;; amdgpu-corpus repo=ROCm/rocSOLVER kind=compiled arch=gfx1030 opt=O3
	.amdgcn_target "amdgcn-amd-amdhsa--gfx1030"
	.amdhsa_code_object_version 6
	.section	.text._ZN9rocsolver6v33100L10reset_infoIiiiEEvPT_T0_T1_S4_,"axG",@progbits,_ZN9rocsolver6v33100L10reset_infoIiiiEEvPT_T0_T1_S4_,comdat
	.globl	_ZN9rocsolver6v33100L10reset_infoIiiiEEvPT_T0_T1_S4_ ; -- Begin function _ZN9rocsolver6v33100L10reset_infoIiiiEEvPT_T0_T1_S4_
	.p2align	8
	.type	_ZN9rocsolver6v33100L10reset_infoIiiiEEvPT_T0_T1_S4_,@function
_ZN9rocsolver6v33100L10reset_infoIiiiEEvPT_T0_T1_S4_: ; @_ZN9rocsolver6v33100L10reset_infoIiiiEEvPT_T0_T1_S4_
; %bb.0:
	s_clause 0x1
	s_load_dword s7, s[4:5], 0x24
	s_load_dwordx4 s[0:3], s[4:5], 0x8
	s_waitcnt lgkmcnt(0)
	s_and_b32 s3, s7, 0xffff
	v_mad_u64_u32 v[0:1], null, s6, s3, v[0:1]
	v_cmp_gt_i32_e32 vcc_lo, s0, v0
	s_and_saveexec_b32 s0, vcc_lo
	s_cbranch_execz .LBB0_2
; %bb.1:
	s_load_dwordx2 s[4:5], s[4:5], 0x0
	v_ashrrev_i32_e32 v1, 31, v0
	s_mov_b32 s0, s1
	v_mad_u64_u32 v[3:4], null, v0, s2, s[0:1]
	v_lshlrev_b64 v[1:2], 2, v[0:1]
	s_waitcnt lgkmcnt(0)
	v_add_co_u32 v0, vcc_lo, s4, v1
	v_add_co_ci_u32_e64 v1, null, s5, v2, vcc_lo
	global_store_dword v[0:1], v3, off
.LBB0_2:
	s_endpgm
	.section	.rodata,"a",@progbits
	.p2align	6, 0x0
	.amdhsa_kernel _ZN9rocsolver6v33100L10reset_infoIiiiEEvPT_T0_T1_S4_
		.amdhsa_group_segment_fixed_size 0
		.amdhsa_private_segment_fixed_size 0
		.amdhsa_kernarg_size 280
		.amdhsa_user_sgpr_count 6
		.amdhsa_user_sgpr_private_segment_buffer 1
		.amdhsa_user_sgpr_dispatch_ptr 0
		.amdhsa_user_sgpr_queue_ptr 0
		.amdhsa_user_sgpr_kernarg_segment_ptr 1
		.amdhsa_user_sgpr_dispatch_id 0
		.amdhsa_user_sgpr_flat_scratch_init 0
		.amdhsa_user_sgpr_private_segment_size 0
		.amdhsa_wavefront_size32 1
		.amdhsa_uses_dynamic_stack 0
		.amdhsa_system_sgpr_private_segment_wavefront_offset 0
		.amdhsa_system_sgpr_workgroup_id_x 1
		.amdhsa_system_sgpr_workgroup_id_y 0
		.amdhsa_system_sgpr_workgroup_id_z 0
		.amdhsa_system_sgpr_workgroup_info 0
		.amdhsa_system_vgpr_workitem_id 0
		.amdhsa_next_free_vgpr 5
		.amdhsa_next_free_sgpr 8
		.amdhsa_reserve_vcc 1
		.amdhsa_reserve_flat_scratch 0
		.amdhsa_float_round_mode_32 0
		.amdhsa_float_round_mode_16_64 0
		.amdhsa_float_denorm_mode_32 3
		.amdhsa_float_denorm_mode_16_64 3
		.amdhsa_dx10_clamp 1
		.amdhsa_ieee_mode 1
		.amdhsa_fp16_overflow 0
		.amdhsa_workgroup_processor_mode 1
		.amdhsa_memory_ordered 1
		.amdhsa_forward_progress 1
		.amdhsa_shared_vgpr_count 0
		.amdhsa_exception_fp_ieee_invalid_op 0
		.amdhsa_exception_fp_denorm_src 0
		.amdhsa_exception_fp_ieee_div_zero 0
		.amdhsa_exception_fp_ieee_overflow 0
		.amdhsa_exception_fp_ieee_underflow 0
		.amdhsa_exception_fp_ieee_inexact 0
		.amdhsa_exception_int_div_zero 0
	.end_amdhsa_kernel
	.section	.text._ZN9rocsolver6v33100L10reset_infoIiiiEEvPT_T0_T1_S4_,"axG",@progbits,_ZN9rocsolver6v33100L10reset_infoIiiiEEvPT_T0_T1_S4_,comdat
.Lfunc_end0:
	.size	_ZN9rocsolver6v33100L10reset_infoIiiiEEvPT_T0_T1_S4_, .Lfunc_end0-_ZN9rocsolver6v33100L10reset_infoIiiiEEvPT_T0_T1_S4_
                                        ; -- End function
	.set _ZN9rocsolver6v33100L10reset_infoIiiiEEvPT_T0_T1_S4_.num_vgpr, 5
	.set _ZN9rocsolver6v33100L10reset_infoIiiiEEvPT_T0_T1_S4_.num_agpr, 0
	.set _ZN9rocsolver6v33100L10reset_infoIiiiEEvPT_T0_T1_S4_.numbered_sgpr, 8
	.set _ZN9rocsolver6v33100L10reset_infoIiiiEEvPT_T0_T1_S4_.num_named_barrier, 0
	.set _ZN9rocsolver6v33100L10reset_infoIiiiEEvPT_T0_T1_S4_.private_seg_size, 0
	.set _ZN9rocsolver6v33100L10reset_infoIiiiEEvPT_T0_T1_S4_.uses_vcc, 1
	.set _ZN9rocsolver6v33100L10reset_infoIiiiEEvPT_T0_T1_S4_.uses_flat_scratch, 0
	.set _ZN9rocsolver6v33100L10reset_infoIiiiEEvPT_T0_T1_S4_.has_dyn_sized_stack, 0
	.set _ZN9rocsolver6v33100L10reset_infoIiiiEEvPT_T0_T1_S4_.has_recursion, 0
	.set _ZN9rocsolver6v33100L10reset_infoIiiiEEvPT_T0_T1_S4_.has_indirect_call, 0
	.section	.AMDGPU.csdata,"",@progbits
; Kernel info:
; codeLenInByte = 116
; TotalNumSgprs: 10
; NumVgprs: 5
; ScratchSize: 0
; MemoryBound: 0
; FloatMode: 240
; IeeeMode: 1
; LDSByteSize: 0 bytes/workgroup (compile time only)
; SGPRBlocks: 0
; VGPRBlocks: 0
; NumSGPRsForWavesPerEU: 10
; NumVGPRsForWavesPerEU: 5
; Occupancy: 16
; WaveLimiterHint : 0
; COMPUTE_PGM_RSRC2:SCRATCH_EN: 0
; COMPUTE_PGM_RSRC2:USER_SGPR: 6
; COMPUTE_PGM_RSRC2:TRAP_HANDLER: 0
; COMPUTE_PGM_RSRC2:TGID_X_EN: 1
; COMPUTE_PGM_RSRC2:TGID_Y_EN: 0
; COMPUTE_PGM_RSRC2:TGID_Z_EN: 0
; COMPUTE_PGM_RSRC2:TIDIG_COMP_CNT: 0
	.section	.text._ZN9rocsolver6v33100L16reset_batch_infoIfiiPfEEvT2_lT0_T1_,"axG",@progbits,_ZN9rocsolver6v33100L16reset_batch_infoIfiiPfEEvT2_lT0_T1_,comdat
	.globl	_ZN9rocsolver6v33100L16reset_batch_infoIfiiPfEEvT2_lT0_T1_ ; -- Begin function _ZN9rocsolver6v33100L16reset_batch_infoIfiiPfEEvT2_lT0_T1_
	.p2align	8
	.type	_ZN9rocsolver6v33100L16reset_batch_infoIfiiPfEEvT2_lT0_T1_,@function
_ZN9rocsolver6v33100L16reset_batch_infoIfiiPfEEvT2_lT0_T1_: ; @_ZN9rocsolver6v33100L16reset_batch_infoIfiiPfEEvT2_lT0_T1_
; %bb.0:
	s_clause 0x1
	s_load_dword s2, s[4:5], 0x24
	s_load_dwordx2 s[0:1], s[4:5], 0x10
	s_waitcnt lgkmcnt(0)
	s_and_b32 s2, s2, 0xffff
	v_mad_u64_u32 v[0:1], null, s6, s2, v[0:1]
	v_cmp_gt_i32_e32 vcc_lo, s0, v0
	s_and_saveexec_b32 s0, vcc_lo
	s_cbranch_execz .LBB1_2
; %bb.1:
	s_load_dwordx4 s[8:11], s[4:5], 0x0
	s_ashr_i32 s0, s7, 31
	v_ashrrev_i32_e32 v1, 31, v0
	v_cvt_f32_i32_e32 v2, s1
	v_lshlrev_b64 v[0:1], 2, v[0:1]
	s_waitcnt lgkmcnt(0)
	s_mul_hi_u32 s2, s10, s7
	s_mul_i32 s0, s10, s0
	s_mul_i32 s3, s11, s7
	s_add_i32 s0, s2, s0
	s_mul_i32 s2, s10, s7
	s_add_i32 s3, s0, s3
	s_lshl_b64 s[2:3], s[2:3], 2
	s_add_u32 s0, s8, s2
	s_addc_u32 s2, s9, s3
	v_add_co_u32 v0, vcc_lo, s0, v0
	v_add_co_ci_u32_e64 v1, null, s2, v1, vcc_lo
	global_store_dword v[0:1], v2, off
.LBB1_2:
	s_endpgm
	.section	.rodata,"a",@progbits
	.p2align	6, 0x0
	.amdhsa_kernel _ZN9rocsolver6v33100L16reset_batch_infoIfiiPfEEvT2_lT0_T1_
		.amdhsa_group_segment_fixed_size 0
		.amdhsa_private_segment_fixed_size 0
		.amdhsa_kernarg_size 280
		.amdhsa_user_sgpr_count 6
		.amdhsa_user_sgpr_private_segment_buffer 1
		.amdhsa_user_sgpr_dispatch_ptr 0
		.amdhsa_user_sgpr_queue_ptr 0
		.amdhsa_user_sgpr_kernarg_segment_ptr 1
		.amdhsa_user_sgpr_dispatch_id 0
		.amdhsa_user_sgpr_flat_scratch_init 0
		.amdhsa_user_sgpr_private_segment_size 0
		.amdhsa_wavefront_size32 1
		.amdhsa_uses_dynamic_stack 0
		.amdhsa_system_sgpr_private_segment_wavefront_offset 0
		.amdhsa_system_sgpr_workgroup_id_x 1
		.amdhsa_system_sgpr_workgroup_id_y 1
		.amdhsa_system_sgpr_workgroup_id_z 0
		.amdhsa_system_sgpr_workgroup_info 0
		.amdhsa_system_vgpr_workitem_id 0
		.amdhsa_next_free_vgpr 3
		.amdhsa_next_free_sgpr 12
		.amdhsa_reserve_vcc 1
		.amdhsa_reserve_flat_scratch 0
		.amdhsa_float_round_mode_32 0
		.amdhsa_float_round_mode_16_64 0
		.amdhsa_float_denorm_mode_32 3
		.amdhsa_float_denorm_mode_16_64 3
		.amdhsa_dx10_clamp 1
		.amdhsa_ieee_mode 1
		.amdhsa_fp16_overflow 0
		.amdhsa_workgroup_processor_mode 1
		.amdhsa_memory_ordered 1
		.amdhsa_forward_progress 1
		.amdhsa_shared_vgpr_count 0
		.amdhsa_exception_fp_ieee_invalid_op 0
		.amdhsa_exception_fp_denorm_src 0
		.amdhsa_exception_fp_ieee_div_zero 0
		.amdhsa_exception_fp_ieee_overflow 0
		.amdhsa_exception_fp_ieee_underflow 0
		.amdhsa_exception_fp_ieee_inexact 0
		.amdhsa_exception_int_div_zero 0
	.end_amdhsa_kernel
	.section	.text._ZN9rocsolver6v33100L16reset_batch_infoIfiiPfEEvT2_lT0_T1_,"axG",@progbits,_ZN9rocsolver6v33100L16reset_batch_infoIfiiPfEEvT2_lT0_T1_,comdat
.Lfunc_end1:
	.size	_ZN9rocsolver6v33100L16reset_batch_infoIfiiPfEEvT2_lT0_T1_, .Lfunc_end1-_ZN9rocsolver6v33100L16reset_batch_infoIfiiPfEEvT2_lT0_T1_
                                        ; -- End function
	.set _ZN9rocsolver6v33100L16reset_batch_infoIfiiPfEEvT2_lT0_T1_.num_vgpr, 3
	.set _ZN9rocsolver6v33100L16reset_batch_infoIfiiPfEEvT2_lT0_T1_.num_agpr, 0
	.set _ZN9rocsolver6v33100L16reset_batch_infoIfiiPfEEvT2_lT0_T1_.numbered_sgpr, 12
	.set _ZN9rocsolver6v33100L16reset_batch_infoIfiiPfEEvT2_lT0_T1_.num_named_barrier, 0
	.set _ZN9rocsolver6v33100L16reset_batch_infoIfiiPfEEvT2_lT0_T1_.private_seg_size, 0
	.set _ZN9rocsolver6v33100L16reset_batch_infoIfiiPfEEvT2_lT0_T1_.uses_vcc, 1
	.set _ZN9rocsolver6v33100L16reset_batch_infoIfiiPfEEvT2_lT0_T1_.uses_flat_scratch, 0
	.set _ZN9rocsolver6v33100L16reset_batch_infoIfiiPfEEvT2_lT0_T1_.has_dyn_sized_stack, 0
	.set _ZN9rocsolver6v33100L16reset_batch_infoIfiiPfEEvT2_lT0_T1_.has_recursion, 0
	.set _ZN9rocsolver6v33100L16reset_batch_infoIfiiPfEEvT2_lT0_T1_.has_indirect_call, 0
	.section	.AMDGPU.csdata,"",@progbits
; Kernel info:
; codeLenInByte = 148
; TotalNumSgprs: 14
; NumVgprs: 3
; ScratchSize: 0
; MemoryBound: 0
; FloatMode: 240
; IeeeMode: 1
; LDSByteSize: 0 bytes/workgroup (compile time only)
; SGPRBlocks: 0
; VGPRBlocks: 0
; NumSGPRsForWavesPerEU: 14
; NumVGPRsForWavesPerEU: 3
; Occupancy: 16
; WaveLimiterHint : 0
; COMPUTE_PGM_RSRC2:SCRATCH_EN: 0
; COMPUTE_PGM_RSRC2:USER_SGPR: 6
; COMPUTE_PGM_RSRC2:TRAP_HANDLER: 0
; COMPUTE_PGM_RSRC2:TGID_X_EN: 1
; COMPUTE_PGM_RSRC2:TGID_Y_EN: 1
; COMPUTE_PGM_RSRC2:TGID_Z_EN: 0
; COMPUTE_PGM_RSRC2:TIDIG_COMP_CNT: 0
	.section	.text._ZN9rocsolver6v33100L10init_identIfPfEEviiT0_iil,"axG",@progbits,_ZN9rocsolver6v33100L10init_identIfPfEEviiT0_iil,comdat
	.globl	_ZN9rocsolver6v33100L10init_identIfPfEEviiT0_iil ; -- Begin function _ZN9rocsolver6v33100L10init_identIfPfEEviiT0_iil
	.p2align	8
	.type	_ZN9rocsolver6v33100L10init_identIfPfEEviiT0_iil,@function
_ZN9rocsolver6v33100L10init_identIfPfEEviiT0_iil: ; @_ZN9rocsolver6v33100L10init_identIfPfEEviiT0_iil
; %bb.0:
	s_clause 0x1
	s_load_dword s2, s[4:5], 0x2c
	s_load_dwordx2 s[0:1], s[4:5], 0x0
	s_waitcnt lgkmcnt(0)
	s_lshr_b32 s3, s2, 16
	s_and_b32 s2, s2, 0xffff
	v_mad_u64_u32 v[2:3], null, s6, s2, v[0:1]
	v_mad_u64_u32 v[3:4], null, s7, s3, v[1:2]
	v_cmp_gt_u32_e32 vcc_lo, s0, v2
	v_cmp_gt_u32_e64 s0, s1, v3
	s_and_b32 s0, vcc_lo, s0
	s_and_saveexec_b32 s1, s0
	s_cbranch_execz .LBB2_6
; %bb.1:
	s_load_dwordx2 s[0:1], s[4:5], 0x10
	s_mov_b32 s2, exec_lo
                                        ; implicit-def: $vgpr0
	v_cmpx_ne_u32_e64 v2, v3
	s_xor_b32 s2, exec_lo, s2
	s_cbranch_execz .LBB2_3
; %bb.2:
	s_waitcnt lgkmcnt(0)
	v_mad_u64_u32 v[0:1], null, v3, s1, v[2:3]
                                        ; implicit-def: $vgpr2_vgpr3
.LBB2_3:
	s_or_saveexec_b32 s2, s2
	v_mov_b32_e32 v1, 0
	v_mov_b32_e32 v3, 0
	s_xor_b32 exec_lo, exec_lo, s2
	s_cbranch_execz .LBB2_5
; %bb.4:
	s_waitcnt lgkmcnt(0)
	v_mad_u64_u32 v[2:3], null, v2, s1, v[2:3]
	v_mov_b32_e32 v3, 1.0
	v_mov_b32_e32 v0, v2
.LBB2_5:
	s_or_b32 exec_lo, exec_lo, s2
	s_clause 0x1
	s_load_dwordx2 s[2:3], s[4:5], 0x18
	s_load_dwordx2 s[4:5], s[4:5], 0x8
	v_lshlrev_b64 v[0:1], 2, v[0:1]
	s_waitcnt lgkmcnt(0)
	s_mul_i32 s1, s3, s8
	s_mul_hi_u32 s3, s2, s8
	s_mul_i32 s2, s2, s8
	s_add_i32 s3, s3, s1
	s_ashr_i32 s1, s0, 31
	s_lshl_b64 s[2:3], s[2:3], 2
	s_add_u32 s2, s4, s2
	s_addc_u32 s3, s5, s3
	s_lshl_b64 s[0:1], s[0:1], 2
	s_add_u32 s0, s2, s0
	s_addc_u32 s1, s3, s1
	v_add_co_u32 v0, vcc_lo, s0, v0
	v_add_co_ci_u32_e64 v1, null, s1, v1, vcc_lo
	global_store_dword v[0:1], v3, off
.LBB2_6:
	s_endpgm
	.section	.rodata,"a",@progbits
	.p2align	6, 0x0
	.amdhsa_kernel _ZN9rocsolver6v33100L10init_identIfPfEEviiT0_iil
		.amdhsa_group_segment_fixed_size 0
		.amdhsa_private_segment_fixed_size 0
		.amdhsa_kernarg_size 288
		.amdhsa_user_sgpr_count 6
		.amdhsa_user_sgpr_private_segment_buffer 1
		.amdhsa_user_sgpr_dispatch_ptr 0
		.amdhsa_user_sgpr_queue_ptr 0
		.amdhsa_user_sgpr_kernarg_segment_ptr 1
		.amdhsa_user_sgpr_dispatch_id 0
		.amdhsa_user_sgpr_flat_scratch_init 0
		.amdhsa_user_sgpr_private_segment_size 0
		.amdhsa_wavefront_size32 1
		.amdhsa_uses_dynamic_stack 0
		.amdhsa_system_sgpr_private_segment_wavefront_offset 0
		.amdhsa_system_sgpr_workgroup_id_x 1
		.amdhsa_system_sgpr_workgroup_id_y 1
		.amdhsa_system_sgpr_workgroup_id_z 1
		.amdhsa_system_sgpr_workgroup_info 0
		.amdhsa_system_vgpr_workitem_id 1
		.amdhsa_next_free_vgpr 5
		.amdhsa_next_free_sgpr 9
		.amdhsa_reserve_vcc 1
		.amdhsa_reserve_flat_scratch 0
		.amdhsa_float_round_mode_32 0
		.amdhsa_float_round_mode_16_64 0
		.amdhsa_float_denorm_mode_32 3
		.amdhsa_float_denorm_mode_16_64 3
		.amdhsa_dx10_clamp 1
		.amdhsa_ieee_mode 1
		.amdhsa_fp16_overflow 0
		.amdhsa_workgroup_processor_mode 1
		.amdhsa_memory_ordered 1
		.amdhsa_forward_progress 1
		.amdhsa_shared_vgpr_count 0
		.amdhsa_exception_fp_ieee_invalid_op 0
		.amdhsa_exception_fp_denorm_src 0
		.amdhsa_exception_fp_ieee_div_zero 0
		.amdhsa_exception_fp_ieee_overflow 0
		.amdhsa_exception_fp_ieee_underflow 0
		.amdhsa_exception_fp_ieee_inexact 0
		.amdhsa_exception_int_div_zero 0
	.end_amdhsa_kernel
	.section	.text._ZN9rocsolver6v33100L10init_identIfPfEEviiT0_iil,"axG",@progbits,_ZN9rocsolver6v33100L10init_identIfPfEEviiT0_iil,comdat
.Lfunc_end2:
	.size	_ZN9rocsolver6v33100L10init_identIfPfEEviiT0_iil, .Lfunc_end2-_ZN9rocsolver6v33100L10init_identIfPfEEviiT0_iil
                                        ; -- End function
	.set _ZN9rocsolver6v33100L10init_identIfPfEEviiT0_iil.num_vgpr, 5
	.set _ZN9rocsolver6v33100L10init_identIfPfEEviiT0_iil.num_agpr, 0
	.set _ZN9rocsolver6v33100L10init_identIfPfEEviiT0_iil.numbered_sgpr, 9
	.set _ZN9rocsolver6v33100L10init_identIfPfEEviiT0_iil.num_named_barrier, 0
	.set _ZN9rocsolver6v33100L10init_identIfPfEEviiT0_iil.private_seg_size, 0
	.set _ZN9rocsolver6v33100L10init_identIfPfEEviiT0_iil.uses_vcc, 1
	.set _ZN9rocsolver6v33100L10init_identIfPfEEviiT0_iil.uses_flat_scratch, 0
	.set _ZN9rocsolver6v33100L10init_identIfPfEEviiT0_iil.has_dyn_sized_stack, 0
	.set _ZN9rocsolver6v33100L10init_identIfPfEEviiT0_iil.has_recursion, 0
	.set _ZN9rocsolver6v33100L10init_identIfPfEEviiT0_iil.has_indirect_call, 0
	.section	.AMDGPU.csdata,"",@progbits
; Kernel info:
; codeLenInByte = 264
; TotalNumSgprs: 11
; NumVgprs: 5
; ScratchSize: 0
; MemoryBound: 0
; FloatMode: 240
; IeeeMode: 1
; LDSByteSize: 0 bytes/workgroup (compile time only)
; SGPRBlocks: 0
; VGPRBlocks: 0
; NumSGPRsForWavesPerEU: 11
; NumVGPRsForWavesPerEU: 5
; Occupancy: 16
; WaveLimiterHint : 0
; COMPUTE_PGM_RSRC2:SCRATCH_EN: 0
; COMPUTE_PGM_RSRC2:USER_SGPR: 6
; COMPUTE_PGM_RSRC2:TRAP_HANDLER: 0
; COMPUTE_PGM_RSRC2:TGID_X_EN: 1
; COMPUTE_PGM_RSRC2:TGID_Y_EN: 1
; COMPUTE_PGM_RSRC2:TGID_Z_EN: 1
; COMPUTE_PGM_RSRC2:TIDIG_COMP_CNT: 1
	.section	.text._ZN9rocsolver6v33100L12sterf_kernelIfEEviPT_lS3_lPiS4_iS2_S2_S2_,"axG",@progbits,_ZN9rocsolver6v33100L12sterf_kernelIfEEviPT_lS3_lPiS4_iS2_S2_S2_,comdat
	.globl	_ZN9rocsolver6v33100L12sterf_kernelIfEEviPT_lS3_lPiS4_iS2_S2_S2_ ; -- Begin function _ZN9rocsolver6v33100L12sterf_kernelIfEEviPT_lS3_lPiS4_iS2_S2_S2_
	.p2align	8
	.type	_ZN9rocsolver6v33100L12sterf_kernelIfEEviPT_lS3_lPiS4_iS2_S2_S2_,@function
_ZN9rocsolver6v33100L12sterf_kernelIfEEviPT_lS3_lPiS4_iS2_S2_S2_: ; @_ZN9rocsolver6v33100L12sterf_kernelIfEEviPT_lS3_lPiS4_iS2_S2_S2_
; %bb.0:
	s_clause 0x2
	s_load_dwordx8 s[8:15], s[4:5], 0x8
	s_load_dword s33, s[4:5], 0x0
	s_load_dwordx4 s[16:19], s[4:5], 0x38
	s_ashr_i32 s7, s6, 31
	s_waitcnt lgkmcnt(0)
	s_mul_hi_u32 s1, s10, s6
	s_mul_i32 s2, s10, s7
	s_mul_i32 s3, s11, s6
	s_add_i32 s1, s1, s2
	s_mul_i32 s0, s10, s6
	s_add_i32 s1, s1, s3
	s_mul_hi_u32 s2, s14, s6
	s_lshl_b64 s[10:11], s[0:1], 2
	s_mul_i32 s3, s14, s7
	s_add_u32 s48, s8, s10
	s_mul_i32 s1, s15, s6
	s_addc_u32 s49, s9, s11
	s_add_i32 s2, s2, s3
	s_mul_i32 s0, s14, s6
	s_add_i32 s1, s2, s1
	s_lshl_b64 s[0:1], s[0:1], 2
	s_add_u32 s14, s12, s0
	s_addc_u32 s15, s13, s1
	s_min_i32 s2, s33, s16
	s_cmp_lt_i32 s2, 1
	s_cbranch_scc1 .LBB3_148
; %bb.1:
	s_add_i32 s50, s33, -1
	s_add_u32 s51, s12, s0
	s_addc_u32 s52, s13, s1
	s_add_u32 s53, s51, -4
	s_addc_u32 s54, s52, -1
	s_add_u32 s55, s8, s10
	s_addc_u32 s56, s9, s11
	v_mul_f32_e64 v0, s17, s17
	s_add_u32 s57, s55, 4
	v_mov_b32_e32 v1, 0
	s_addc_u32 s58, s56, 0
	s_add_u32 s59, s51, 4
	s_mov_b32 s12, 0x667f3bcd
	s_addc_u32 s60, s52, 0
	s_mov_b32 s61, 0
	s_mov_b32 s13, 0x3ff6a09e
	;; [unrolled: 1-line block ×4, first 2 shown]
	s_branch .LBB3_3
.LBB3_2:                                ;   in Loop: Header=BB3_3 Depth=1
	s_andn2_b32 vcc_lo, exec_lo, s0
	s_cbranch_vccz .LBB3_20
.LBB3_3:                                ; =>This Loop Header: Depth=1
                                        ;     Child Loop BB3_7 Depth 2
                                        ;     Child Loop BB3_14 Depth 2
                                        ;     Child Loop BB3_31 Depth 2
                                        ;     Child Loop BB3_25 Depth 2
                                        ;     Child Loop BB3_36 Depth 2
                                        ;     Child Loop BB3_54 Depth 2
                                        ;       Child Loop BB3_56 Depth 3
                                        ;       Child Loop BB3_68 Depth 3
                                        ;     Child Loop BB3_102 Depth 2
                                        ;       Child Loop BB3_104 Depth 3
                                        ;       Child Loop BB3_117 Depth 3
                                        ;     Child Loop BB3_46 Depth 2
                                        ;     Child Loop BB3_50 Depth 2
	s_mov_b32 s20, s21
	s_cmp_lt_i32 s21, 1
	s_cbranch_scc1 .LBB3_5
; %bb.4:                                ;   in Loop: Header=BB3_3 Depth=1
	s_mov_b32 s21, s61
	s_lshl_b64 s[0:1], s[20:21], 2
	s_add_u32 s0, s14, s0
	s_addc_u32 s1, s15, s1
	global_store_dword v1, v1, s[0:1] offset:-4
.LBB3_5:                                ;   in Loop: Header=BB3_3 Depth=1
	s_ashr_i32 s21, s20, 31
	s_mov_b32 s22, s20
	s_lshl_b64 s[24:25], s[20:21], 2
	s_add_u32 s2, s53, s24
	s_addc_u32 s3, s54, s25
	s_add_u32 s26, s57, s24
	s_addc_u32 s27, s58, s25
	s_mov_b32 s0, -1
	s_cmp_ge_i32 s22, s50
	s_mov_b32 s1, -1
                                        ; implicit-def: $sgpr21
	s_cbranch_scc1 .LBB3_7
.LBB3_6:                                ;   in Loop: Header=BB3_3 Depth=1
	s_clause 0x1
	global_load_dwordx2 v[2:3], v1, s[26:27] offset:-4
	global_load_dword v4, v1, s[2:3] offset:4
	s_add_u32 s2, s2, 4
	s_addc_u32 s3, s3, 0
	s_add_i32 s21, s22, 1
	s_add_u32 s26, s26, 4
	s_addc_u32 s27, s27, 0
	s_waitcnt vmcnt(1)
	v_mul_f32_e64 v5, 0x4f800000, |v2|
	v_cmp_gt_f32_e64 vcc_lo, 0xf800000, |v2|
	v_mul_f32_e64 v6, 0x4f800000, |v3|
	v_cmp_gt_f32_e64 s0, 0xf800000, |v3|
	v_cndmask_b32_e64 v2, |v2|, v5, vcc_lo
	v_cndmask_b32_e64 v3, |v3|, v6, s0
	v_sqrt_f32_e32 v5, v2
	v_sqrt_f32_e32 v6, v3
	v_add_nc_u32_e32 v7, -1, v5
	v_add_nc_u32_e32 v9, 1, v5
	v_add_nc_u32_e32 v8, -1, v6
	v_add_nc_u32_e32 v10, 1, v6
	v_fma_f32 v11, -v7, v5, v2
	v_fma_f32 v13, -v9, v5, v2
	;; [unrolled: 1-line block ×4, first 2 shown]
	v_cmp_ge_f32_e64 s1, 0, v11
	v_cndmask_b32_e64 v5, v5, v7, s1
	v_cmp_ge_f32_e64 s1, 0, v12
	v_cndmask_b32_e64 v6, v6, v8, s1
	v_cmp_lt_f32_e64 s1, 0, v13
	v_cndmask_b32_e64 v5, v5, v9, s1
	v_cmp_lt_f32_e64 s1, 0, v14
	v_mul_f32_e32 v7, 0x37800000, v5
	v_cndmask_b32_e64 v6, v6, v10, s1
	v_cndmask_b32_e32 v5, v5, v7, vcc_lo
	v_mul_f32_e32 v8, 0x37800000, v6
	v_cmp_class_f32_e64 vcc_lo, v2, 0x260
	v_cndmask_b32_e64 v6, v6, v8, s0
	v_cndmask_b32_e32 v2, v5, v2, vcc_lo
	v_cmp_class_f32_e64 vcc_lo, v3, 0x260
	s_mov_b32 s0, 0
	v_cndmask_b32_e32 v3, v6, v3, vcc_lo
	v_mul_f32_e32 v2, v2, v3
	v_mul_f32_e32 v2, s17, v2
	s_waitcnt vmcnt(0)
	v_cmp_le_f32_e64 s1, |v4|, v2
.LBB3_7:                                ;   Parent Loop BB3_3 Depth=1
                                        ; =>  This Inner Loop Header: Depth=2
	s_andn2_b32 vcc_lo, exec_lo, s1
	s_cbranch_vccz .LBB3_9
; %bb.8:                                ;   in Loop: Header=BB3_7 Depth=2
	s_mov_b32 s22, s21
	s_mov_b32 s0, -1
	s_cmp_ge_i32 s22, s50
	s_mov_b32 s1, -1
                                        ; implicit-def: $sgpr21
	s_cbranch_scc0 .LBB3_6
	s_branch .LBB3_7
.LBB3_9:                                ;   in Loop: Header=BB3_3 Depth=1
	s_andn2_b32 vcc_lo, exec_lo, s0
	s_mov_b32 s0, -1
	s_cbranch_vccnz .LBB3_16
; %bb.10:                               ;   in Loop: Header=BB3_3 Depth=1
	s_andn2_b32 vcc_lo, exec_lo, s0
	s_cbranch_vccz .LBB3_17
.LBB3_11:                               ;   in Loop: Header=BB3_3 Depth=1
	s_cmp_lg_u32 s22, s20
	s_mov_b32 s28, -1
	s_cbranch_scc0 .LBB3_18
.LBB3_12:                               ;   in Loop: Header=BB3_3 Depth=1
	s_ashr_i32 s23, s22, 31
	s_lshl_b64 s[0:1], s[22:23], 2
	s_add_u32 s26, s48, s0
	s_addc_u32 s27, s49, s1
	s_cmp_lt_i32 s20, s22
	global_load_dword v3, v1, s[26:27]
	s_cselect_b32 s23, -1, 0
	s_cmp_ge_i32 s20, s22
	s_waitcnt vmcnt(0)
	v_and_b32_e32 v2, 0x7fffffff, v3
	s_cbranch_scc1 .LBB3_15
; %bb.13:                               ;   in Loop: Header=BB3_3 Depth=1
	s_add_u32 s0, s55, s24
	s_addc_u32 s1, s56, s25
	s_add_u32 s2, s51, s24
	s_addc_u32 s3, s52, s25
	s_mov_b32 s29, s20
.LBB3_14:                               ;   Parent Loop BB3_3 Depth=1
                                        ; =>  This Inner Loop Header: Depth=2
	s_clause 0x1
	global_load_dword v4, v1, s[0:1]
	global_load_dword v5, v1, s[2:3]
	s_add_i32 s29, s29, 1
	s_add_u32 s0, s0, 4
	s_addc_u32 s1, s1, 0
	s_add_u32 s2, s2, 4
	s_addc_u32 s3, s3, 0
	s_cmp_lt_i32 s29, s22
	s_waitcnt vmcnt(0)
	v_max3_f32 v2, v2, |v4|, |v5|
	s_cbranch_scc1 .LBB3_14
.LBB3_15:                               ;   in Loop: Header=BB3_3 Depth=1
	v_cmp_eq_f32_e64 s0, 0, v2
	s_and_b32 vcc_lo, exec_lo, s0
	s_mov_b32 s0, -1
	s_cbranch_vccz .LBB3_2
	s_branch .LBB3_19
.LBB3_16:                               ;   in Loop: Header=BB3_3 Depth=1
	global_store_dword v1, v1, s[2:3]
	s_cbranch_execnz .LBB3_11
.LBB3_17:                               ;   in Loop: Header=BB3_3 Depth=1
	s_max_i32 s22, s20, s50
	s_add_i32 s21, s22, 1
	s_cmp_lg_u32 s22, s20
	s_mov_b32 s28, -1
	s_cbranch_scc1 .LBB3_12
.LBB3_18:                               ;   in Loop: Header=BB3_3 Depth=1
                                        ; implicit-def: $sgpr26_sgpr27
                                        ; implicit-def: $vgpr3
                                        ; implicit-def: $sgpr23
                                        ; implicit-def: $vgpr2
	s_mov_b32 s0, -1
	s_cbranch_execz .LBB3_2
.LBB3_19:                               ;   in Loop: Header=BB3_3 Depth=1
	s_cmp_ge_i32 s21, s33
	s_mov_b32 s28, 0
	s_cselect_b32 s0, -1, 0
	s_branch .LBB3_2
.LBB3_20:                               ;   in Loop: Header=BB3_3 Depth=1
	s_and_b32 vcc_lo, exec_lo, s28
	s_mov_b32 s0, -1
                                        ; implicit-def: $sgpr63
	s_cbranch_vccz .LBB3_52
; %bb.21:                               ;   in Loop: Header=BB3_3 Depth=1
	v_cmp_nlt_f32_e32 vcc_lo, s19, v2
	s_cbranch_vccz .LBB3_27
; %bb.22:                               ;   in Loop: Header=BB3_3 Depth=1
	v_cmp_gt_f32_e32 vcc_lo, s18, v2
	s_cbranch_vccz .LBB3_28
; %bb.23:                               ;   in Loop: Header=BB3_3 Depth=1
	v_div_scale_f32 v4, null, s18, s18, v2
	v_div_scale_f32 v7, vcc_lo, v2, s18, v2
	s_mov_b32 s0, 0
	v_rcp_f32_e32 v5, v4
	v_fma_f32 v6, -v4, v5, 1.0
	v_fmac_f32_e32 v5, v6, v5
	v_mul_f32_e32 v6, v7, v5
	v_fma_f32 v8, -v4, v6, v7
	v_fmac_f32_e32 v6, v8, v5
	v_fma_f32 v4, -v4, v6, v7
	v_div_fmas_f32 v4, v4, v5, v6
	s_and_b32 vcc_lo, exec_lo, s23
	v_div_fixup_f32 v4, v4, s18, v2
	s_waitcnt vmcnt(0)
	v_mul_f32_e32 v5, v3, v4
	global_store_dword v1, v5, s[26:27]
	s_cbranch_vccz .LBB3_28
; %bb.24:                               ;   in Loop: Header=BB3_3 Depth=1
	s_add_u32 s0, s55, s24
	s_addc_u32 s1, s56, s25
	s_add_u32 s2, s51, s24
	s_addc_u32 s3, s52, s25
	s_mov_b32 s28, s20
	.p2align	6
.LBB3_25:                               ;   Parent Loop BB3_3 Depth=1
                                        ; =>  This Inner Loop Header: Depth=2
	global_load_dword v5, v1, s[0:1]
	s_add_i32 s28, s28, 1
	s_waitcnt vmcnt(0)
	v_mul_f32_e32 v5, v4, v5
	global_store_dword v1, v5, s[0:1]
	global_load_dword v5, v1, s[2:3]
	s_add_u32 s0, s0, 4
	s_addc_u32 s1, s1, 0
	s_waitcnt vmcnt(0)
	v_mul_f32_e32 v5, v4, v5
	global_store_dword v1, v5, s[2:3]
	s_add_u32 s2, s2, 4
	s_addc_u32 s3, s3, 0
	s_cmp_lt_i32 s28, s22
	s_cbranch_scc1 .LBB3_25
; %bb.26:                               ;   in Loop: Header=BB3_3 Depth=1
	s_mov_b32 s0, -1
	s_branch .LBB3_33
.LBB3_27:                               ;   in Loop: Header=BB3_3 Depth=1
	s_mov_b32 s0, 0
	s_cbranch_execnz .LBB3_29
	s_branch .LBB3_33
.LBB3_28:                               ;   in Loop: Header=BB3_3 Depth=1
	s_branch .LBB3_33
.LBB3_29:                               ;   in Loop: Header=BB3_3 Depth=1
	v_div_scale_f32 v4, null, s19, s19, v2
	v_div_scale_f32 v7, vcc_lo, v2, s19, v2
	v_rcp_f32_e32 v5, v4
	v_fma_f32 v6, -v4, v5, 1.0
	v_fmac_f32_e32 v5, v6, v5
	v_mul_f32_e32 v6, v7, v5
	v_fma_f32 v8, -v4, v6, v7
	v_fmac_f32_e32 v6, v8, v5
	v_fma_f32 v4, -v4, v6, v7
	v_div_fmas_f32 v4, v4, v5, v6
	s_and_b32 vcc_lo, exec_lo, s23
	v_div_fixup_f32 v4, v4, s19, v2
	s_waitcnt vmcnt(0)
	v_mul_f32_e32 v3, v3, v4
	global_store_dword v1, v3, s[26:27]
	s_cbranch_vccz .LBB3_33
; %bb.30:                               ;   in Loop: Header=BB3_3 Depth=1
	s_add_u32 s0, s55, s24
	s_addc_u32 s1, s56, s25
	s_add_u32 s2, s51, s24
	s_addc_u32 s3, s52, s25
	s_mov_b32 s28, s20
	.p2align	6
.LBB3_31:                               ;   Parent Loop BB3_3 Depth=1
                                        ; =>  This Inner Loop Header: Depth=2
	global_load_dword v3, v1, s[0:1]
	s_add_i32 s28, s28, 1
	s_waitcnt vmcnt(0)
	v_mul_f32_e32 v3, v4, v3
	global_store_dword v1, v3, s[0:1]
	global_load_dword v3, v1, s[2:3]
	s_add_u32 s0, s0, 4
	s_addc_u32 s1, s1, 0
	s_waitcnt vmcnt(0)
	v_mul_f32_e32 v3, v4, v3
	global_store_dword v1, v3, s[2:3]
	s_add_u32 s2, s2, 4
	s_addc_u32 s3, s3, 0
	s_cmp_ge_i32 s28, s22
	s_cbranch_scc0 .LBB3_31
; %bb.32:                               ;   in Loop: Header=BB3_3 Depth=1
	s_mov_b32 s0, -1
.LBB3_33:                               ;   in Loop: Header=BB3_3 Depth=1
	s_waitcnt vmcnt(0)
	v_cndmask_b32_e64 v3, 0, 1, s23
	s_and_b32 vcc_lo, exec_lo, s0
	v_cmp_ne_u32_e64 s0, 1, v3
	s_cbranch_vccz .LBB3_37
; %bb.34:                               ;   in Loop: Header=BB3_3 Depth=1
	s_and_b32 vcc_lo, exec_lo, s0
	s_cbranch_vccnz .LBB3_37
; %bb.35:                               ;   in Loop: Header=BB3_3 Depth=1
	s_add_u32 s2, s51, s24
	s_addc_u32 s3, s52, s25
	s_mov_b32 s1, s20
.LBB3_36:                               ;   Parent Loop BB3_3 Depth=1
                                        ; =>  This Inner Loop Header: Depth=2
	global_load_dword v3, v1, s[2:3]
	s_add_i32 s1, s1, 1
	s_waitcnt vmcnt(0)
	v_mul_f32_e32 v3, v3, v3
	global_store_dword v1, v3, s[2:3]
	s_add_u32 s2, s2, 4
	s_addc_u32 s3, s3, 0
	s_cmp_lt_i32 s1, s22
	s_cbranch_scc1 .LBB3_36
.LBB3_37:                               ;   in Loop: Header=BB3_3 Depth=1
	s_add_u32 s2, s48, s24
	s_addc_u32 s3, s49, s25
	s_clause 0x1
	global_load_dword v3, v1, s[26:27]
	global_load_dword v4, v1, s[2:3]
	s_mov_b32 s2, -1
                                        ; implicit-def: $sgpr63
	s_waitcnt vmcnt(0)
	v_cmp_lt_f32_e64 s1, |v3|, |v4|
	s_and_b32 s1, s1, exec_lo
	s_cselect_b32 s23, s20, s22
	s_cselect_b32 s28, s22, s20
	s_cmp_lt_i32 s62, s16
	s_cselect_b32 s1, -1, 0
	s_cmp_lt_i32 s23, s28
	v_cndmask_b32_e64 v3, 0, 1, s1
	v_cmp_ne_u32_e64 s1, 1, v3
	s_cbranch_scc0 .LBB3_40
; %bb.38:                               ;   in Loop: Header=BB3_3 Depth=1
	s_andn2_b32 vcc_lo, exec_lo, s2
	s_cbranch_vccz .LBB3_42
.LBB3_39:                               ;   in Loop: Header=BB3_3 Depth=1
	v_cmp_lt_f32_e32 vcc_lo, s19, v2
	s_andn2_b32 vcc_lo, exec_lo, vcc_lo
	s_cbranch_vccz .LBB3_44
	s_branch .LBB3_47
.LBB3_40:                               ;   in Loop: Header=BB3_3 Depth=1
	s_and_b32 vcc_lo, exec_lo, s1
	s_mov_b32 s63, s62
	s_mov_b32 s30, s28
	s_cbranch_vccz .LBB3_54
.LBB3_41:                               ;   in Loop: Header=BB3_3 Depth=1
	s_cbranch_execnz .LBB3_39
.LBB3_42:                               ;   in Loop: Header=BB3_3 Depth=1
	s_and_b32 vcc_lo, exec_lo, s1
	s_cbranch_vccz .LBB3_102
.LBB3_43:                               ;   in Loop: Header=BB3_3 Depth=1
	s_mov_b32 s63, s62
	v_cmp_lt_f32_e32 vcc_lo, s19, v2
	s_andn2_b32 vcc_lo, exec_lo, vcc_lo
	s_cbranch_vccnz .LBB3_47
.LBB3_44:                               ;   in Loop: Header=BB3_3 Depth=1
	global_load_dword v4, v1, s[26:27]
	s_waitcnt vmcnt(1)
	v_div_scale_f32 v3, null, v2, v2, s19
	v_rcp_f32_e32 v5, v3
	v_fma_f32 v6, -v3, v5, 1.0
	v_fmac_f32_e32 v5, v6, v5
	v_div_scale_f32 v6, vcc_lo, s19, v2, s19
	v_mul_f32_e32 v7, v6, v5
	v_fma_f32 v8, -v3, v7, v6
	v_fmac_f32_e32 v7, v8, v5
	v_fma_f32 v3, -v3, v7, v6
	v_div_fmas_f32 v3, v3, v5, v7
	s_and_b32 vcc_lo, exec_lo, s0
	v_div_fixup_f32 v3, v3, v2, s19
	s_waitcnt vmcnt(0)
	v_mul_f32_e32 v4, v3, v4
	global_store_dword v1, v4, s[26:27]
	s_cbranch_vccnz .LBB3_47
; %bb.45:                               ;   in Loop: Header=BB3_3 Depth=1
	s_add_u32 s2, s55, s24
	s_addc_u32 s3, s56, s25
	s_add_u32 s28, s51, s24
	s_addc_u32 s29, s52, s25
	s_mov_b32 s1, s20
	.p2align	6
.LBB3_46:                               ;   Parent Loop BB3_3 Depth=1
                                        ; =>  This Inner Loop Header: Depth=2
	global_load_dword v4, v1, s[2:3]
	s_add_i32 s1, s1, 1
	s_waitcnt vmcnt(0)
	v_mul_f32_e32 v4, v3, v4
	global_store_dword v1, v4, s[2:3]
	global_load_dword v4, v1, s[28:29]
	s_add_u32 s2, s2, 4
	s_addc_u32 s3, s3, 0
	s_waitcnt vmcnt(0)
	v_mul_f32_e32 v4, v3, v4
	global_store_dword v1, v4, s[28:29]
	s_add_u32 s28, s28, 4
	s_addc_u32 s29, s29, 0
	s_cmp_lt_i32 s1, s22
	s_cbranch_scc1 .LBB3_46
.LBB3_47:                               ;   in Loop: Header=BB3_3 Depth=1
	v_cmp_ngt_f32_e32 vcc_lo, s18, v2
	s_cbranch_vccnz .LBB3_51
; %bb.48:                               ;   in Loop: Header=BB3_3 Depth=1
	global_load_dword v3, v1, s[26:27]
	v_div_scale_f32 v4, null, v2, v2, s18
	v_rcp_f32_e32 v5, v4
	v_fma_f32 v6, -v4, v5, 1.0
	v_fmac_f32_e32 v5, v6, v5
	v_div_scale_f32 v6, vcc_lo, s18, v2, s18
	v_mul_f32_e32 v7, v6, v5
	v_fma_f32 v8, -v4, v7, v6
	v_fmac_f32_e32 v7, v8, v5
	v_fma_f32 v4, -v4, v7, v6
	v_div_fmas_f32 v4, v4, v5, v7
	s_and_b32 vcc_lo, exec_lo, s0
	v_div_fixup_f32 v2, v4, v2, s18
	s_waitcnt vmcnt(0)
	v_mul_f32_e32 v3, v2, v3
	global_store_dword v1, v3, s[26:27]
	s_cbranch_vccnz .LBB3_51
; %bb.49:                               ;   in Loop: Header=BB3_3 Depth=1
	s_add_u32 s0, s55, s24
	s_addc_u32 s1, s56, s25
	s_add_u32 s2, s51, s24
	s_addc_u32 s3, s52, s25
	.p2align	6
.LBB3_50:                               ;   Parent Loop BB3_3 Depth=1
                                        ; =>  This Inner Loop Header: Depth=2
	global_load_dword v3, v1, s[0:1]
	s_add_i32 s20, s20, 1
	s_waitcnt vmcnt(0)
	v_mul_f32_e32 v3, v2, v3
	global_store_dword v1, v3, s[0:1]
	global_load_dword v3, v1, s[2:3]
	s_add_u32 s0, s0, 4
	s_addc_u32 s1, s1, 0
	s_waitcnt vmcnt(0)
	v_mul_f32_e32 v3, v2, v3
	global_store_dword v1, v3, s[2:3]
	s_add_u32 s2, s2, 4
	s_addc_u32 s3, s3, 0
	s_cmp_lt_i32 s20, s22
	s_cbranch_scc1 .LBB3_50
.LBB3_51:                               ;   in Loop: Header=BB3_3 Depth=1
	s_cmp_ge_i32 s63, s16
	s_cselect_b32 s0, -1, 0
	s_cmp_ge_i32 s21, s33
	s_cselect_b32 s1, -1, 0
	s_or_b32 s0, s1, s0
.LBB3_52:                               ;   in Loop: Header=BB3_3 Depth=1
	s_and_b32 vcc_lo, exec_lo, s0
	s_mov_b32 s62, s63
	s_cbranch_vccz .LBB3_3
	s_branch .LBB3_148
.LBB3_53:                               ;   in Loop: Header=BB3_54 Depth=2
	s_andn2_b32 vcc_lo, exec_lo, s29
	s_cbranch_vccz .LBB3_41
.LBB3_54:                               ;   Parent Loop BB3_3 Depth=1
                                        ; =>  This Loop Header: Depth=2
                                        ;       Child Loop BB3_56 Depth 3
                                        ;       Child Loop BB3_68 Depth 3
	s_ashr_i32 s31, s30, 31
	s_max_i32 s36, s23, s30
	s_lshl_b64 s[38:39], s[30:31], 2
	s_mov_b32 s29, s30
	s_add_u32 s2, s53, s38
	s_addc_u32 s3, s54, s39
	s_add_u32 s34, s57, s38
	s_addc_u32 s35, s58, s39
	s_mov_b32 s31, -1
	s_cmp_ge_i32 s29, s23
	s_mov_b32 s40, -1
                                        ; implicit-def: $sgpr37
	s_cbranch_scc1 .LBB3_56
	.p2align	6
.LBB3_55:                               ;   in Loop: Header=BB3_54 Depth=2
	s_clause 0x1
	global_load_dwordx2 v[3:4], v1, s[34:35] offset:-4
	global_load_dword v5, v1, s[2:3] offset:4
	s_add_u32 s2, s2, 4
	s_addc_u32 s3, s3, 0
	s_add_i32 s37, s29, 1
	s_add_u32 s34, s34, 4
	s_addc_u32 s35, s35, 0
	s_mov_b32 s31, 0
	s_waitcnt vmcnt(1)
	v_mul_f32_e32 v3, v3, v4
	v_mul_f32_e64 v3, v0, |v3|
	s_waitcnt vmcnt(0)
	v_cmp_le_f32_e64 s40, |v5|, v3
.LBB3_56:                               ;   Parent Loop BB3_3 Depth=1
                                        ;     Parent Loop BB3_54 Depth=2
                                        ; =>    This Inner Loop Header: Depth=3
	s_andn2_b32 vcc_lo, exec_lo, s40
	s_cbranch_vccz .LBB3_58
; %bb.57:                               ;   in Loop: Header=BB3_56 Depth=3
	s_mov_b32 s29, s37
	s_mov_b32 s31, -1
	s_cmp_ge_i32 s29, s23
	s_mov_b32 s40, -1
                                        ; implicit-def: $sgpr37
	s_cbranch_scc0 .LBB3_55
	s_branch .LBB3_56
.LBB3_58:                               ;   in Loop: Header=BB3_54 Depth=2
	s_andn2_b32 vcc_lo, exec_lo, s31
	s_cbranch_vccz .LBB3_60
; %bb.59:                               ;   in Loop: Header=BB3_54 Depth=2
	s_mov_b32 s36, s29
	global_store_dword v1, v1, s[2:3]
.LBB3_60:                               ;   in Loop: Header=BB3_54 Depth=2
	s_add_i32 s2, s30, 1
	s_cmp_eq_u32 s36, s30
	s_mov_b32 s29, -1
	s_cbranch_scc1 .LBB3_76
; %bb.61:                               ;   in Loop: Header=BB3_54 Depth=2
	s_add_u32 s34, s48, s38
	s_addc_u32 s35, s49, s39
	s_cmp_lg_u32 s36, s2
	global_load_dword v3, v1, s[34:35]
	s_cbranch_scc0 .LBB3_77
; %bb.62:                               ;   in Loop: Header=BB3_54 Depth=2
	s_mov_b32 s31, 0
	s_cmp_lg_u32 s63, s16
	s_mov_b32 s3, s16
	s_mov_b32 s2, 0
	s_cbranch_scc0 .LBB3_78
; %bb.63:                               ;   in Loop: Header=BB3_54 Depth=2
	s_add_u32 s40, s14, s38
	s_addc_u32 s41, s15, s39
	s_ashr_i32 s37, s36, 31
	global_load_dword v4, v1, s[40:41]
	s_lshl_b64 s[44:45], s[36:37], 2
	s_add_u32 s42, s48, s44
	s_addc_u32 s43, s49, s45
	s_clause 0x1
	global_load_dword v5, v1, s[42:43]
	global_load_dword v6, v1, s[34:35] offset:4
	s_cmp_le_i32 s36, s30
	s_waitcnt vmcnt(2)
	v_mul_f32_e32 v7, 0x4f800000, v4
	v_cmp_gt_f32_e32 vcc_lo, 0xf800000, v4
	v_cndmask_b32_e32 v4, v4, v7, vcc_lo
	s_waitcnt vmcnt(0)
	v_sub_f32_e32 v6, v6, v3
	v_sqrt_f32_e32 v7, v4
	v_add_nc_u32_e32 v8, -1, v7
	v_add_nc_u32_e32 v9, 1, v7
	v_fma_f32 v10, -v8, v7, v4
	v_fma_f32 v11, -v9, v7, v4
	v_cmp_ge_f32_e64 s2, 0, v10
	v_cndmask_b32_e64 v7, v7, v8, s2
	v_cmp_lt_f32_e64 s2, 0, v11
	v_cndmask_b32_e64 v7, v7, v9, s2
	v_mul_f32_e32 v8, 0x37800000, v7
	v_cndmask_b32_e32 v7, v7, v8, vcc_lo
	v_cmp_class_f32_e64 vcc_lo, v4, 0x260
	v_cndmask_b32_e32 v4, v7, v4, vcc_lo
	v_add_f32_e32 v7, v4, v4
	v_div_scale_f32 v8, null, v7, v7, v6
	v_div_scale_f32 v11, vcc_lo, v6, v7, v6
	v_rcp_f32_e32 v9, v8
	v_fma_f32 v10, -v8, v9, 1.0
	v_fmac_f32_e32 v9, v10, v9
	v_mul_f32_e32 v10, v11, v9
	v_fma_f32 v12, -v8, v10, v11
	v_fmac_f32_e32 v10, v12, v9
	v_fma_f32 v8, -v8, v10, v11
	v_div_fmas_f32 v8, v8, v9, v10
	v_div_fixup_f32 v6, v8, v7, v6
	v_fma_f32 v7, v6, v6, 1.0
	v_mul_f32_e32 v8, 0x4f800000, v7
	v_cmp_gt_f32_e32 vcc_lo, 0xf800000, v7
	v_cndmask_b32_e32 v7, v7, v8, vcc_lo
	v_sqrt_f32_e32 v8, v7
	v_add_nc_u32_e32 v9, -1, v8
	v_add_nc_u32_e32 v10, 1, v8
	v_fma_f32 v11, -v9, v8, v7
	v_fma_f32 v12, -v10, v8, v7
	v_cmp_ge_f32_e64 s2, 0, v11
	v_cndmask_b32_e64 v8, v8, v9, s2
	v_cmp_lt_f32_e64 s2, 0, v12
	v_cndmask_b32_e64 v8, v8, v10, s2
	v_mul_f32_e32 v9, 0x37800000, v8
	v_cndmask_b32_e32 v8, v8, v9, vcc_lo
	v_cmp_class_f32_e64 vcc_lo, v7, 0x260
	v_cndmask_b32_e32 v7, v8, v7, vcc_lo
	v_cmp_nle_f32_e32 vcc_lo, 0, v6
	v_cndmask_b32_e64 v7, |v7|, -|v7|, vcc_lo
	v_add_f32_e32 v6, v6, v7
	v_div_scale_f32 v7, null, v6, v6, v4
	v_div_scale_f32 v10, vcc_lo, v4, v6, v4
	v_rcp_f32_e32 v8, v7
	v_fma_f32 v9, -v7, v8, 1.0
	v_fmac_f32_e32 v8, v9, v8
	v_mul_f32_e32 v9, v10, v8
	v_fma_f32 v11, -v7, v9, v10
	v_fmac_f32_e32 v9, v11, v8
	v_fma_f32 v7, -v7, v9, v10
	v_div_fmas_f32 v7, v7, v8, v9
	v_div_fixup_f32 v4, v7, v6, v4
	v_mov_b32_e32 v6, 0
	v_sub_f32_e32 v4, v3, v4
	v_sub_f32_e32 v7, v5, v4
	v_mul_f32_e32 v8, v7, v7
	s_cbranch_scc1 .LBB3_98
; %bb.64:                               ;   in Loop: Header=BB3_54 Depth=2
	s_add_u32 s2, s14, s44
	s_addc_u32 s3, s15, s45
	s_clause 0x1
	global_load_dword v5, v1, s[2:3] offset:-4
	global_load_dword v10, v1, s[42:43] offset:-4
	s_waitcnt vmcnt(1)
	v_add_f32_e32 v9, v8, v5
	v_div_scale_f32 v6, null, v9, v9, v8
	v_div_scale_f32 v11, null, v9, v9, v5
	v_div_scale_f32 v16, vcc_lo, v8, v9, v8
	v_rcp_f32_e32 v12, v6
	v_rcp_f32_e32 v13, v11
	v_fma_f32 v14, -v6, v12, 1.0
	v_fma_f32 v15, -v11, v13, 1.0
	v_fmac_f32_e32 v12, v14, v12
	v_div_scale_f32 v14, s2, v5, v9, v5
	v_fmac_f32_e32 v13, v15, v13
	v_mul_f32_e32 v15, v16, v12
	v_mul_f32_e32 v17, v14, v13
	v_fma_f32 v18, -v6, v15, v16
	v_fma_f32 v19, -v11, v17, v14
	v_fmac_f32_e32 v15, v18, v12
	v_fmac_f32_e32 v17, v19, v13
	v_fma_f32 v6, -v6, v15, v16
	v_fma_f32 v11, -v11, v17, v14
	v_div_fmas_f32 v12, v6, v12, v15
	s_mov_b32 vcc_lo, s2
	v_div_fmas_f32 v6, v11, v13, v17
	s_waitcnt vmcnt(0)
	v_sub_f32_e32 v11, v10, v4
	v_div_fixup_f32 v8, v12, v9, v8
	v_div_fixup_f32 v6, v6, v9, v5
	v_cmp_eq_f32_e32 vcc_lo, 0, v8
	v_mul_f32_e32 v9, v7, v6
	s_and_b32 vcc_lo, exec_lo, vcc_lo
	v_fma_f32 v9, v8, v11, -v9
	v_sub_f32_e32 v10, v10, v9
	v_add_f32_e32 v7, v7, v10
	global_store_dword v1, v7, s[42:43]
	s_cbranch_vccnz .LBB3_66
; %bb.65:                               ;   in Loop: Header=BB3_54 Depth=2
	v_mul_f32_e32 v5, v9, v9
	v_div_scale_f32 v7, null, v8, v8, v5
	v_rcp_f32_e32 v10, v7
	v_fma_f32 v11, -v7, v10, 1.0
	v_fmac_f32_e32 v10, v11, v10
	v_div_scale_f32 v11, vcc_lo, v5, v8, v5
	v_mul_f32_e32 v12, v11, v10
	v_fma_f32 v13, -v7, v12, v11
	v_fmac_f32_e32 v12, v13, v10
	v_fma_f32 v7, -v7, v12, v11
	v_div_fmas_f32 v7, v7, v10, v12
	v_div_fixup_f32 v5, v7, v8, v5
.LBB3_66:                               ;   in Loop: Header=BB3_54 Depth=2
	s_add_i32 s2, s36, -1
	s_cmp_le_i32 s2, s30
	s_cbranch_scc1 .LBB3_96
; %bb.67:                               ;   in Loop: Header=BB3_54 Depth=2
	s_add_i32 s2, s36, -2
	s_mov_b32 s37, -1
	s_ashr_i32 s3, s2, 31
	s_lshl_b64 s[2:3], s[2:3], 2
	s_add_u32 s44, s57, s2
	s_addc_u32 s45, s58, s3
	s_add_u32 s46, s59, s2
	s_addc_u32 s47, s60, s3
.LBB3_68:                               ;   Parent Loop BB3_3 Depth=1
                                        ;     Parent Loop BB3_54 Depth=2
                                        ; =>    This Inner Loop Header: Depth=3
	global_load_dword v10, v1, s[46:47] offset:-4
	s_add_u32 s42, s46, -4
	s_addc_u32 s43, s47, -1
	s_cmp_eq_u32 s37, 0
	s_waitcnt vmcnt(0)
	v_add_f32_e32 v7, v5, v10
	s_cbranch_scc1 .LBB3_70
; %bb.69:                               ;   in Loop: Header=BB3_68 Depth=3
	v_mul_f32_e32 v6, v6, v7
	global_store_dword v1, v6, s[46:47]
.LBB3_70:                               ;   in Loop: Header=BB3_68 Depth=3
	global_load_dword v12, v1, s[44:45] offset:-4
	v_div_scale_f32 v6, null, v7, v7, v5
	v_div_scale_f32 v11, null, v7, v7, v10
	v_div_scale_f32 v17, vcc_lo, v5, v7, v5
	v_rcp_f32_e32 v13, v6
	v_rcp_f32_e32 v14, v11
	v_fma_f32 v15, -v6, v13, 1.0
	v_fma_f32 v16, -v11, v14, 1.0
	v_fmac_f32_e32 v13, v15, v13
	v_div_scale_f32 v15, s2, v10, v7, v10
	v_fmac_f32_e32 v14, v16, v14
	v_mul_f32_e32 v16, v17, v13
	v_mul_f32_e32 v18, v15, v14
	v_fma_f32 v19, -v6, v16, v17
	v_fma_f32 v20, -v11, v18, v15
	v_fmac_f32_e32 v16, v19, v13
	v_fmac_f32_e32 v18, v20, v14
	v_fma_f32 v6, -v6, v16, v17
	v_fma_f32 v11, -v11, v18, v15
	v_div_fmas_f32 v13, v6, v13, v16
	s_mov_b32 vcc_lo, s2
	s_add_u32 s2, s44, -4
	v_div_fmas_f32 v6, v11, v14, v18
	s_addc_u32 s3, s45, -1
	v_div_fixup_f32 v11, v13, v7, v5
	v_div_fixup_f32 v6, v6, v7, v10
	v_cmp_eq_f32_e32 vcc_lo, 0, v11
	v_mul_f32_e32 v5, v9, v6
	s_and_b32 vcc_lo, exec_lo, vcc_lo
	s_waitcnt vmcnt(0)
	v_sub_f32_e32 v7, v12, v4
	v_fma_f32 v7, v11, v7, -v5
	v_sub_f32_e32 v5, v12, v7
	v_add_f32_e32 v5, v9, v5
	global_store_dword v1, v5, s[44:45]
	s_cbranch_vccz .LBB3_75
; %bb.71:                               ;   in Loop: Header=BB3_68 Depth=3
	v_mul_f32_e32 v5, v8, v10
	s_cbranch_execnz .LBB3_73
.LBB3_72:                               ;   in Loop: Header=BB3_68 Depth=3
	v_mul_f32_e32 v5, v7, v7
	v_div_scale_f32 v8, null, v11, v11, v5
	v_rcp_f32_e32 v9, v8
	v_fma_f32 v10, -v8, v9, 1.0
	v_fmac_f32_e32 v9, v10, v9
	v_div_scale_f32 v10, vcc_lo, v5, v11, v5
	v_mul_f32_e32 v12, v10, v9
	v_fma_f32 v13, -v8, v12, v10
	v_fmac_f32_e32 v12, v13, v9
	v_fma_f32 v8, -v8, v12, v10
	v_div_fmas_f32 v8, v8, v9, v12
	v_div_fixup_f32 v5, v8, v11, v5
.LBB3_73:                               ;   in Loop: Header=BB3_68 Depth=3
	s_add_i32 s37, s37, -1
	s_add_i32 s44, s36, s37
	s_cmp_le_i32 s44, s30
	s_cbranch_scc1 .LBB3_97
; %bb.74:                               ;   in Loop: Header=BB3_68 Depth=3
	v_mov_b32_e32 v8, v11
	v_mov_b32_e32 v9, v7
	s_mov_b64 s[46:47], s[42:43]
	s_mov_b64 s[44:45], s[2:3]
	s_branch .LBB3_68
.LBB3_75:                               ;   in Loop: Header=BB3_68 Depth=3
                                        ; implicit-def: $vgpr5
	s_branch .LBB3_72
.LBB3_76:                               ;   in Loop: Header=BB3_54 Depth=2
	s_mov_b32 s30, s2
	s_cbranch_execz .LBB3_53
	s_branch .LBB3_100
.LBB3_77:                               ;   in Loop: Header=BB3_54 Depth=2
	s_mov_b32 s31, -1
	s_mov_b32 s2, 0
                                        ; implicit-def: $sgpr3
.LBB3_78:                               ;   in Loop: Header=BB3_54 Depth=2
	s_and_b32 vcc_lo, exec_lo, s31
	s_cbranch_vccz .LBB3_99
.LBB3_79:                               ;   in Loop: Header=BB3_54 Depth=2
	s_add_u32 s38, s14, s38
	s_addc_u32 s39, s15, s39
	s_ashr_i32 s37, s36, 31
	global_load_dword v4, v1, s[38:39]
	s_lshl_b64 s[2:3], s[36:37], 2
	s_add_u32 s36, s48, s2
	s_addc_u32 s37, s49, s3
	global_load_dword v5, v1, s[36:37]
	s_waitcnt vmcnt(1)
	v_mul_f32_e32 v6, 0x4f800000, v4
	v_cmp_gt_f32_e32 vcc_lo, 0xf800000, v4
	v_cndmask_b32_e32 v4, v4, v6, vcc_lo
	v_sqrt_f32_e32 v6, v4
	v_add_nc_u32_e32 v7, -1, v6
	v_add_nc_u32_e32 v8, 1, v6
	v_fma_f32 v9, -v7, v6, v4
	v_fma_f32 v10, -v8, v6, v4
	v_cmp_ge_f32_e64 s2, 0, v9
	v_cndmask_b32_e64 v6, v6, v7, s2
	v_cmp_lt_f32_e64 s2, 0, v10
	v_cndmask_b32_e64 v6, v6, v8, s2
	v_mul_f32_e32 v7, 0x37800000, v6
	v_cndmask_b32_e32 v6, v6, v7, vcc_lo
	v_cmp_class_f32_e64 vcc_lo, v4, 0x260
	s_waitcnt vmcnt(0)
	v_sub_f32_e32 v7, v3, v5
	v_cndmask_b32_e32 v4, v6, v4, vcc_lo
	v_add_f32_e32 v8, v4, v4
	v_cmp_ngt_f32_e64 s2, |v7|, |v8|
	v_and_b32_e32 v9, 0x7fffffff, v8
	s_and_b32 vcc_lo, exec_lo, s2
	s_cbranch_vccz .LBB3_82
; %bb.80:                               ;   in Loop: Header=BB3_54 Depth=2
	v_cmp_nlt_f32_e64 s2, |v7|, |v8|
	s_and_b32 vcc_lo, exec_lo, s2
	s_cbranch_vccz .LBB3_83
; %bb.81:                               ;   in Loop: Header=BB3_54 Depth=2
	v_cvt_f64_f32_e32 v[10:11], v9
	v_mul_f64 v[10:11], v[10:11], s[12:13]
	v_cvt_f32_f64_e32 v6, v[10:11]
	s_cbranch_execz .LBB3_84
	s_branch .LBB3_85
.LBB3_82:                               ;   in Loop: Header=BB3_54 Depth=2
                                        ; implicit-def: $vgpr6
	s_branch .LBB3_86
.LBB3_83:                               ;   in Loop: Header=BB3_54 Depth=2
                                        ; implicit-def: $vgpr6
.LBB3_84:                               ;   in Loop: Header=BB3_54 Depth=2
	v_and_b32_e32 v6, 0x7fffffff, v7
	v_div_scale_f32 v10, null, v9, v9, v6
	v_div_scale_f32 v6, vcc_lo, v6, v9, v6
	v_rcp_f32_e32 v11, v10
	v_fma_f32 v12, -v10, v11, 1.0
	v_fmac_f32_e32 v11, v12, v11
	v_mul_f32_e32 v12, v6, v11
	v_fma_f32 v13, -v10, v12, v6
	v_fmac_f32_e32 v12, v13, v11
	v_fma_f32 v6, -v10, v12, v6
	v_div_fmas_f32 v6, v6, v11, v12
	v_div_fixup_f32 v6, v6, |v8|, |v7|
	v_fma_f32 v6, v6, v6, 1.0
	v_mul_f32_e32 v10, 0x4f800000, v6
	v_cmp_gt_f32_e32 vcc_lo, 0xf800000, v6
	v_cndmask_b32_e32 v6, v6, v10, vcc_lo
	v_sqrt_f32_e32 v10, v6
	v_add_nc_u32_e32 v11, -1, v10
	v_add_nc_u32_e32 v12, 1, v10
	v_fma_f32 v13, -v11, v10, v6
	v_fma_f32 v14, -v12, v10, v6
	v_cmp_ge_f32_e64 s2, 0, v13
	v_cndmask_b32_e64 v10, v10, v11, s2
	v_cmp_lt_f32_e64 s2, 0, v14
	v_cndmask_b32_e64 v10, v10, v12, s2
	v_mul_f32_e32 v11, 0x37800000, v10
	v_cndmask_b32_e32 v10, v10, v11, vcc_lo
	v_cmp_class_f32_e64 vcc_lo, v6, 0x260
	v_cndmask_b32_e32 v6, v10, v6, vcc_lo
	v_mul_f32_e64 v6, |v8|, v6
.LBB3_85:                               ;   in Loop: Header=BB3_54 Depth=2
	s_cbranch_execnz .LBB3_87
.LBB3_86:                               ;   in Loop: Header=BB3_54 Depth=2
	v_and_b32_e32 v6, 0x7fffffff, v7
	v_div_scale_f32 v10, null, v6, v6, v9
	v_div_scale_f32 v6, vcc_lo, v9, v6, v9
	v_rcp_f32_e32 v11, v10
	v_fma_f32 v12, -v10, v11, 1.0
	v_fmac_f32_e32 v11, v12, v11
	v_mul_f32_e32 v9, v6, v11
	v_fma_f32 v12, -v10, v9, v6
	v_fmac_f32_e32 v9, v12, v11
	v_fma_f32 v6, -v10, v9, v6
	v_div_fmas_f32 v6, v6, v11, v9
	v_div_fixup_f32 v6, v6, |v7|, |v8|
	v_fma_f32 v6, v6, v6, 1.0
	v_mul_f32_e32 v8, 0x4f800000, v6
	v_cmp_gt_f32_e32 vcc_lo, 0xf800000, v6
	v_cndmask_b32_e32 v6, v6, v8, vcc_lo
	v_sqrt_f32_e32 v8, v6
	v_add_nc_u32_e32 v9, -1, v8
	v_add_nc_u32_e32 v10, 1, v8
	v_fma_f32 v11, -v9, v8, v6
	v_fma_f32 v12, -v10, v8, v6
	v_cmp_ge_f32_e64 s2, 0, v11
	v_cndmask_b32_e64 v8, v8, v9, s2
	v_cmp_lt_f32_e64 s2, 0, v12
	v_cndmask_b32_e64 v8, v8, v10, s2
	v_mul_f32_e32 v9, 0x37800000, v8
	v_cndmask_b32_e32 v8, v8, v9, vcc_lo
	v_cmp_class_f32_e64 vcc_lo, v6, 0x260
	v_cndmask_b32_e32 v6, v8, v6, vcc_lo
	v_mul_f32_e64 v6, |v7|, v6
.LBB3_87:                               ;   in Loop: Header=BB3_54 Depth=2
	v_add_f32_e32 v8, v3, v5
	v_cmp_gt_f32_e64 vcc_lo, |v3|, |v5|
	v_cmp_ngt_f32_e64 s2, 0, v8
	v_cndmask_b32_e32 v7, v3, v5, vcc_lo
	v_cndmask_b32_e32 v5, v5, v3, vcc_lo
	s_and_b32 vcc_lo, exec_lo, s2
	s_cbranch_vccz .LBB3_90
; %bb.88:                               ;   in Loop: Header=BB3_54 Depth=2
	v_cmp_nlt_f32_e32 vcc_lo, 0, v8
	s_cbranch_vccz .LBB3_91
; %bb.89:                               ;   in Loop: Header=BB3_54 Depth=2
	v_mul_f32_e32 v3, 0.5, v6
	v_mul_f32_e32 v9, -0.5, v6
	s_cbranch_execz .LBB3_92
	s_branch .LBB3_93
.LBB3_90:                               ;   in Loop: Header=BB3_54 Depth=2
                                        ; implicit-def: $vgpr9
                                        ; implicit-def: $vgpr3
	s_branch .LBB3_94
.LBB3_91:                               ;   in Loop: Header=BB3_54 Depth=2
                                        ; implicit-def: $vgpr9
                                        ; implicit-def: $vgpr3
.LBB3_92:                               ;   in Loop: Header=BB3_54 Depth=2
	v_add_f32_e32 v3, v8, v6
	v_cvt_f64_f32_e32 v[9:10], v5
	v_cvt_f64_f32_e32 v[13:14], v4
	v_mul_f32_e32 v3, 0.5, v3
	v_cvt_f64_f32_e32 v[11:12], v3
	v_div_scale_f64 v[15:16], null, v[11:12], v[11:12], v[9:10]
	v_div_scale_f64 v[17:18], null, v[11:12], v[11:12], v[13:14]
	v_div_scale_f64 v[27:28], vcc_lo, v[9:10], v[11:12], v[9:10]
	v_rcp_f64_e32 v[19:20], v[15:16]
	v_rcp_f64_e32 v[21:22], v[17:18]
	v_fma_f64 v[23:24], -v[15:16], v[19:20], 1.0
	v_fma_f64 v[25:26], -v[17:18], v[21:22], 1.0
	v_fma_f64 v[19:20], v[19:20], v[23:24], v[19:20]
	v_fma_f64 v[21:22], v[21:22], v[25:26], v[21:22]
	v_fma_f64 v[23:24], -v[15:16], v[19:20], 1.0
	v_fma_f64 v[25:26], -v[17:18], v[21:22], 1.0
	v_fma_f64 v[19:20], v[19:20], v[23:24], v[19:20]
	v_div_scale_f64 v[23:24], s2, v[13:14], v[11:12], v[13:14]
	v_fma_f64 v[21:22], v[21:22], v[25:26], v[21:22]
	v_mul_f64 v[25:26], v[27:28], v[19:20]
	v_mul_f64 v[29:30], v[23:24], v[21:22]
	v_fma_f64 v[15:16], -v[15:16], v[25:26], v[27:28]
	v_fma_f64 v[17:18], -v[17:18], v[29:30], v[23:24]
	v_div_fmas_f64 v[15:16], v[15:16], v[19:20], v[25:26]
	s_mov_b32 vcc_lo, s2
	v_div_fmas_f64 v[17:18], v[17:18], v[21:22], v[29:30]
	v_div_fixup_f64 v[9:10], v[15:16], v[11:12], v[9:10]
	v_div_fixup_f64 v[17:18], v[17:18], v[11:12], v[13:14]
	v_cvt_f64_f32_e32 v[11:12], v7
	v_mul_f64 v[13:14], v[17:18], v[13:14]
	v_fma_f64 v[9:10], v[9:10], v[11:12], -v[13:14]
	v_cvt_f32_f64_e32 v9, v[9:10]
.LBB3_93:                               ;   in Loop: Header=BB3_54 Depth=2
	s_cbranch_execnz .LBB3_95
.LBB3_94:                               ;   in Loop: Header=BB3_54 Depth=2
	v_sub_f32_e32 v3, v8, v6
	v_cvt_f64_f32_e32 v[5:6], v5
	v_cvt_f64_f32_e32 v[10:11], v4
	v_mul_f32_e32 v3, 0.5, v3
	v_cvt_f64_f32_e32 v[8:9], v3
	v_div_scale_f64 v[12:13], null, v[8:9], v[8:9], v[5:6]
	v_div_scale_f64 v[14:15], null, v[8:9], v[8:9], v[10:11]
	v_div_scale_f64 v[24:25], vcc_lo, v[5:6], v[8:9], v[5:6]
	v_rcp_f64_e32 v[16:17], v[12:13]
	v_rcp_f64_e32 v[18:19], v[14:15]
	v_fma_f64 v[20:21], -v[12:13], v[16:17], 1.0
	v_fma_f64 v[22:23], -v[14:15], v[18:19], 1.0
	v_fma_f64 v[16:17], v[16:17], v[20:21], v[16:17]
	v_fma_f64 v[18:19], v[18:19], v[22:23], v[18:19]
	v_fma_f64 v[20:21], -v[12:13], v[16:17], 1.0
	v_fma_f64 v[22:23], -v[14:15], v[18:19], 1.0
	v_fma_f64 v[16:17], v[16:17], v[20:21], v[16:17]
	v_div_scale_f64 v[20:21], s2, v[10:11], v[8:9], v[10:11]
	v_fma_f64 v[18:19], v[18:19], v[22:23], v[18:19]
	v_mul_f64 v[22:23], v[24:25], v[16:17]
	v_mul_f64 v[26:27], v[20:21], v[18:19]
	v_fma_f64 v[12:13], -v[12:13], v[22:23], v[24:25]
	v_fma_f64 v[14:15], -v[14:15], v[26:27], v[20:21]
	v_div_fmas_f64 v[12:13], v[12:13], v[16:17], v[22:23]
	s_mov_b32 vcc_lo, s2
	v_div_fmas_f64 v[14:15], v[14:15], v[18:19], v[26:27]
	v_div_fixup_f64 v[4:5], v[12:13], v[8:9], v[5:6]
	v_cvt_f64_f32_e32 v[6:7], v7
	v_div_fixup_f64 v[14:15], v[14:15], v[8:9], v[10:11]
	v_mul_f64 v[8:9], v[14:15], v[10:11]
	v_fma_f64 v[4:5], v[4:5], v[6:7], -v[8:9]
	v_cvt_f32_f64_e32 v9, v[4:5]
.LBB3_95:                               ;   in Loop: Header=BB3_54 Depth=2
	global_store_dword v1, v3, s[34:35]
	global_store_dword v1, v9, s[36:37]
	s_add_i32 s30, s30, 2
	global_store_dword v1, v1, s[38:39]
	s_cbranch_execz .LBB3_53
	s_branch .LBB3_100
.LBB3_96:                               ;   in Loop: Header=BB3_54 Depth=2
	v_mov_b32_e32 v7, v9
.LBB3_97:                               ;   in Loop: Header=BB3_54 Depth=2
	v_mov_b32_e32 v8, v5
.LBB3_98:                               ;   in Loop: Header=BB3_54 Depth=2
	v_mul_f32_e32 v5, v6, v8
	v_add_f32_e32 v4, v4, v7
	s_add_i32 s3, s63, 1
	s_mov_b32 s2, -1
	global_store_dword v1, v5, s[40:41]
	global_store_dword v1, v4, s[34:35]
	s_and_b32 vcc_lo, exec_lo, s31
	s_cbranch_vccnz .LBB3_79
.LBB3_99:                               ;   in Loop: Header=BB3_54 Depth=2
	s_mov_b32 s63, s3
	s_and_b32 vcc_lo, exec_lo, s2
	s_cbranch_vccz .LBB3_53
.LBB3_100:                              ;   in Loop: Header=BB3_54 Depth=2
	s_cmp_gt_i32 s30, s23
	s_cselect_b32 s2, -1, 0
	s_cmp_ge_i32 s63, s16
	s_cselect_b32 s3, -1, 0
	s_or_b32 s29, s2, s3
	s_branch .LBB3_53
.LBB3_101:                              ;   in Loop: Header=BB3_102 Depth=2
	s_andn2_b32 vcc_lo, exec_lo, s29
	s_cbranch_vccz .LBB3_43
.LBB3_102:                              ;   Parent Loop BB3_3 Depth=1
                                        ; =>  This Loop Header: Depth=2
                                        ;       Child Loop BB3_104 Depth 3
                                        ;       Child Loop BB3_117 Depth 3
	s_ashr_i32 s29, s28, 31
	s_min_i32 s30, s23, s28
	s_lshl_b64 s[34:35], s[28:29], 2
	s_mov_b32 s1, s28
	s_add_u32 s36, s55, s34
	s_addc_u32 s37, s56, s35
	s_add_u32 s2, s59, s34
	s_addc_u32 s3, s60, s35
	s_mov_b32 s31, -1
	s_cmp_le_i32 s1, s23
	s_mov_b32 s38, -1
                                        ; implicit-def: $sgpr29
	s_cbranch_scc1 .LBB3_104
	.p2align	6
.LBB3_103:                              ;   in Loop: Header=BB3_102 Depth=2
	s_clause 0x1
	global_load_dwordx2 v[3:4], v1, s[36:37] offset:-4
	global_load_dword v5, v1, s[2:3] offset:-8
	s_add_i32 s29, s1, -1
	s_add_u32 s36, s36, -4
	s_addc_u32 s37, s37, -1
	s_add_u32 s2, s2, -4
	s_addc_u32 s3, s3, -1
	s_mov_b32 s31, 0
	s_waitcnt vmcnt(1)
	v_mul_f32_e32 v3, v4, v3
	v_mul_f32_e64 v3, v0, |v3|
	s_waitcnt vmcnt(0)
	v_cmp_le_f32_e64 s38, |v5|, v3
.LBB3_104:                              ;   Parent Loop BB3_3 Depth=1
                                        ;     Parent Loop BB3_102 Depth=2
                                        ; =>    This Inner Loop Header: Depth=3
	s_andn2_b32 vcc_lo, exec_lo, s38
	s_cbranch_vccz .LBB3_106
; %bb.105:                              ;   in Loop: Header=BB3_104 Depth=3
	s_mov_b32 s1, s29
	s_mov_b32 s31, -1
	s_cmp_le_i32 s1, s23
	s_mov_b32 s38, -1
                                        ; implicit-def: $sgpr29
	s_cbranch_scc0 .LBB3_103
	s_branch .LBB3_104
.LBB3_106:                              ;   in Loop: Header=BB3_102 Depth=2
	s_andn2_b32 vcc_lo, exec_lo, s31
	s_cbranch_vccz .LBB3_108
; %bb.107:                              ;   in Loop: Header=BB3_102 Depth=2
	s_mov_b32 s30, s1
	global_store_dword v1, v1, s[2:3] offset:-4
.LBB3_108:                              ;   in Loop: Header=BB3_102 Depth=2
	s_add_i32 s1, s28, -1
	s_cmp_eq_u32 s30, s28
	s_mov_b32 s29, -1
	s_cbranch_scc1 .LBB3_123
; %bb.109:                              ;   in Loop: Header=BB3_102 Depth=2
	s_add_u32 s2, s48, s34
	s_addc_u32 s3, s49, s35
	s_cmp_lg_u32 s30, s1
	global_load_dword v3, v1, s[2:3]
	s_cbranch_scc0 .LBB3_124
; %bb.110:                              ;   in Loop: Header=BB3_102 Depth=2
	s_mov_b32 s40, 0
	s_cmp_lg_u32 s62, s16
	s_mov_b32 s31, s16
	s_mov_b32 s1, 0
	s_cbranch_scc0 .LBB3_125
; %bb.111:                              ;   in Loop: Header=BB3_102 Depth=2
	s_add_u32 s34, s14, s34
	s_addc_u32 s35, s15, s35
	s_ashr_i32 s31, s30, 31
	global_load_dword v4, v1, s[34:35] offset:-4
	s_lshl_b64 s[38:39], s[30:31], 2
	s_add_u32 s36, s48, s38
	s_addc_u32 s37, s49, s39
	s_clause 0x1
	global_load_dword v5, v1, s[36:37]
	global_load_dword v6, v1, s[2:3] offset:-4
	s_cmp_ge_i32 s30, s28
	s_waitcnt vmcnt(2)
	v_mul_f32_e32 v7, 0x4f800000, v4
	v_cmp_gt_f32_e32 vcc_lo, 0xf800000, v4
	v_cndmask_b32_e32 v4, v4, v7, vcc_lo
	s_waitcnt vmcnt(0)
	v_sub_f32_e32 v6, v6, v3
	v_sqrt_f32_e32 v7, v4
	v_add_nc_u32_e32 v8, -1, v7
	v_add_nc_u32_e32 v9, 1, v7
	v_fma_f32 v10, -v8, v7, v4
	v_fma_f32 v11, -v9, v7, v4
	v_cmp_ge_f32_e64 s1, 0, v10
	v_cndmask_b32_e64 v7, v7, v8, s1
	v_cmp_lt_f32_e64 s1, 0, v11
	v_cndmask_b32_e64 v7, v7, v9, s1
	v_mul_f32_e32 v8, 0x37800000, v7
	v_cndmask_b32_e32 v7, v7, v8, vcc_lo
	v_cmp_class_f32_e64 vcc_lo, v4, 0x260
	v_cndmask_b32_e32 v4, v7, v4, vcc_lo
	v_add_f32_e32 v7, v4, v4
	v_div_scale_f32 v8, null, v7, v7, v6
	v_div_scale_f32 v11, vcc_lo, v6, v7, v6
	v_rcp_f32_e32 v9, v8
	v_fma_f32 v10, -v8, v9, 1.0
	v_fmac_f32_e32 v9, v10, v9
	v_mul_f32_e32 v10, v11, v9
	v_fma_f32 v12, -v8, v10, v11
	v_fmac_f32_e32 v10, v12, v9
	v_fma_f32 v8, -v8, v10, v11
	v_div_fmas_f32 v8, v8, v9, v10
	v_div_fixup_f32 v6, v8, v7, v6
	v_fma_f32 v7, v6, v6, 1.0
	v_mul_f32_e32 v8, 0x4f800000, v7
	v_cmp_gt_f32_e32 vcc_lo, 0xf800000, v7
	v_cndmask_b32_e32 v7, v7, v8, vcc_lo
	v_sqrt_f32_e32 v8, v7
	v_add_nc_u32_e32 v9, -1, v8
	v_add_nc_u32_e32 v10, 1, v8
	v_fma_f32 v11, -v9, v8, v7
	v_fma_f32 v12, -v10, v8, v7
	v_cmp_ge_f32_e64 s1, 0, v11
	v_cndmask_b32_e64 v8, v8, v9, s1
	v_cmp_lt_f32_e64 s1, 0, v12
	v_cndmask_b32_e64 v8, v8, v10, s1
	v_mul_f32_e32 v9, 0x37800000, v8
	v_cndmask_b32_e32 v8, v8, v9, vcc_lo
	v_cmp_class_f32_e64 vcc_lo, v7, 0x260
	v_cndmask_b32_e32 v7, v8, v7, vcc_lo
	v_cmp_nle_f32_e32 vcc_lo, 0, v6
	v_cndmask_b32_e64 v7, |v7|, -|v7|, vcc_lo
	v_add_f32_e32 v6, v6, v7
	v_div_scale_f32 v7, null, v6, v6, v4
	v_div_scale_f32 v10, vcc_lo, v4, v6, v4
	v_rcp_f32_e32 v8, v7
	v_fma_f32 v9, -v7, v8, 1.0
	v_fmac_f32_e32 v8, v9, v8
	v_mul_f32_e32 v9, v10, v8
	v_fma_f32 v11, -v7, v9, v10
	v_fmac_f32_e32 v9, v11, v8
	v_fma_f32 v7, -v7, v9, v10
	v_div_fmas_f32 v7, v7, v8, v9
	v_div_fixup_f32 v4, v7, v6, v4
	v_mov_b32_e32 v6, 0
	v_sub_f32_e32 v4, v3, v4
	v_sub_f32_e32 v7, v5, v4
	v_mul_f32_e32 v8, v7, v7
	s_cbranch_scc1 .LBB3_145
; %bb.112:                              ;   in Loop: Header=BB3_102 Depth=2
	s_add_u32 s38, s14, s38
	s_addc_u32 s39, s15, s39
	s_clause 0x1
	global_load_dword v5, v1, s[38:39]
	global_load_dword v10, v1, s[36:37] offset:4
	s_waitcnt vmcnt(1)
	v_add_f32_e32 v9, v8, v5
	v_div_scale_f32 v6, null, v9, v9, v8
	v_div_scale_f32 v11, null, v9, v9, v5
	v_div_scale_f32 v16, vcc_lo, v8, v9, v8
	v_rcp_f32_e32 v12, v6
	v_rcp_f32_e32 v13, v11
	v_fma_f32 v14, -v6, v12, 1.0
	v_fma_f32 v15, -v11, v13, 1.0
	v_fmac_f32_e32 v12, v14, v12
	v_div_scale_f32 v14, s1, v5, v9, v5
	v_fmac_f32_e32 v13, v15, v13
	v_mul_f32_e32 v15, v16, v12
	v_mul_f32_e32 v17, v14, v13
	v_fma_f32 v18, -v6, v15, v16
	v_fma_f32 v19, -v11, v17, v14
	v_fmac_f32_e32 v15, v18, v12
	v_fmac_f32_e32 v17, v19, v13
	v_fma_f32 v6, -v6, v15, v16
	v_fma_f32 v11, -v11, v17, v14
	v_div_fmas_f32 v12, v6, v12, v15
	s_mov_b32 vcc_lo, s1
	v_div_fmas_f32 v6, v11, v13, v17
	s_waitcnt vmcnt(0)
	v_sub_f32_e32 v11, v10, v4
	v_div_fixup_f32 v8, v12, v9, v8
	v_div_fixup_f32 v6, v6, v9, v5
	v_cmp_eq_f32_e32 vcc_lo, 0, v8
	v_mul_f32_e32 v9, v7, v6
	s_and_b32 vcc_lo, exec_lo, vcc_lo
	v_fma_f32 v9, v8, v11, -v9
	v_sub_f32_e32 v10, v10, v9
	v_add_f32_e32 v7, v7, v10
	global_store_dword v1, v7, s[36:37]
	s_cbranch_vccnz .LBB3_114
; %bb.113:                              ;   in Loop: Header=BB3_102 Depth=2
	v_mul_f32_e32 v5, v9, v9
	v_div_scale_f32 v7, null, v8, v8, v5
	v_rcp_f32_e32 v10, v7
	v_fma_f32 v11, -v7, v10, 1.0
	v_fmac_f32_e32 v10, v11, v10
	v_div_scale_f32 v11, vcc_lo, v5, v8, v5
	v_mul_f32_e32 v12, v11, v10
	v_fma_f32 v13, -v7, v12, v11
	v_fmac_f32_e32 v12, v13, v10
	v_fma_f32 v7, -v7, v12, v11
	v_div_fmas_f32 v7, v7, v10, v12
	v_div_fixup_f32 v5, v7, v8, v5
.LBB3_114:                              ;   in Loop: Header=BB3_102 Depth=2
	s_add_i32 s36, s30, 1
	s_cmp_ge_i32 s36, s28
	s_cbranch_scc1 .LBB3_143
; %bb.115:                              ;   in Loop: Header=BB3_102 Depth=2
	s_ashr_i32 s37, s36, 31
	s_mov_b32 s31, 1
	s_lshl_b64 s[38:39], s[36:37], 2
	s_add_u32 s36, s51, s38
	s_addc_u32 s37, s52, s39
	s_add_u32 s38, s57, s38
	s_addc_u32 s39, s58, s39
	global_load_dword v10, v1, s[36:37]
	s_cmp_eq_u32 s31, 0
	s_waitcnt vmcnt(0)
	v_add_f32_e32 v7, v5, v10
	s_cbranch_scc1 .LBB3_117
.LBB3_116:                              ;   in Loop: Header=BB3_102 Depth=2
	v_mul_f32_e32 v6, v6, v7
	global_store_dword v1, v6, s[36:37] offset:-4
.LBB3_117:                              ;   Parent Loop BB3_3 Depth=1
                                        ;     Parent Loop BB3_102 Depth=2
                                        ; =>    This Inner Loop Header: Depth=3
	global_load_dword v12, v1, s[38:39]
	v_div_scale_f32 v6, null, v7, v7, v5
	v_div_scale_f32 v11, null, v7, v7, v10
	v_div_scale_f32 v17, vcc_lo, v5, v7, v5
	v_rcp_f32_e32 v13, v6
	v_rcp_f32_e32 v14, v11
	v_fma_f32 v15, -v6, v13, 1.0
	v_fma_f32 v16, -v11, v14, 1.0
	v_fmac_f32_e32 v13, v15, v13
	v_div_scale_f32 v15, s1, v10, v7, v10
	v_fmac_f32_e32 v14, v16, v14
	v_mul_f32_e32 v16, v17, v13
	v_mul_f32_e32 v18, v15, v14
	v_fma_f32 v19, -v6, v16, v17
	v_fma_f32 v20, -v11, v18, v15
	v_fmac_f32_e32 v16, v19, v13
	v_fmac_f32_e32 v18, v20, v14
	v_fma_f32 v6, -v6, v16, v17
	v_fma_f32 v11, -v11, v18, v15
	v_div_fmas_f32 v13, v6, v13, v16
	s_mov_b32 vcc_lo, s1
	v_div_fmas_f32 v6, v11, v14, v18
	v_div_fixup_f32 v11, v13, v7, v5
	v_div_fixup_f32 v6, v6, v7, v10
	v_cmp_eq_f32_e32 vcc_lo, 0, v11
	v_mul_f32_e32 v5, v9, v6
	s_and_b32 vcc_lo, exec_lo, vcc_lo
	s_waitcnt vmcnt(0)
	v_sub_f32_e32 v7, v12, v4
	v_fma_f32 v7, v11, v7, -v5
	v_sub_f32_e32 v5, v12, v7
	v_add_f32_e32 v5, v9, v5
	global_store_dword v1, v5, s[38:39] offset:-4
	s_cbranch_vccz .LBB3_122
; %bb.118:                              ;   in Loop: Header=BB3_117 Depth=3
	v_mul_f32_e32 v5, v8, v10
	s_cbranch_execnz .LBB3_120
.LBB3_119:                              ;   in Loop: Header=BB3_117 Depth=3
	v_mul_f32_e32 v5, v7, v7
	v_div_scale_f32 v8, null, v11, v11, v5
	v_rcp_f32_e32 v9, v8
	v_fma_f32 v10, -v8, v9, 1.0
	v_fmac_f32_e32 v9, v10, v9
	v_div_scale_f32 v10, vcc_lo, v5, v11, v5
	v_mul_f32_e32 v12, v10, v9
	v_fma_f32 v13, -v8, v12, v10
	v_fmac_f32_e32 v12, v13, v9
	v_fma_f32 v8, -v8, v12, v10
	v_div_fmas_f32 v8, v8, v9, v12
	v_div_fixup_f32 v5, v8, v11, v5
.LBB3_120:                              ;   in Loop: Header=BB3_117 Depth=3
	s_add_i32 s31, s31, 1
	s_add_i32 s1, s30, s31
	s_add_u32 s36, s36, 4
	s_addc_u32 s37, s37, 0
	s_add_u32 s38, s38, 4
	s_addc_u32 s39, s39, 0
	s_cmp_ge_i32 s1, s28
	s_cbranch_scc1 .LBB3_144
; %bb.121:                              ;   in Loop: Header=BB3_117 Depth=3
	v_mov_b32_e32 v8, v11
	v_mov_b32_e32 v9, v7
	global_load_dword v10, v1, s[36:37]
	s_cmp_eq_u32 s31, 0
	s_waitcnt vmcnt(0)
	v_add_f32_e32 v7, v5, v10
	s_cbranch_scc0 .LBB3_116
	s_branch .LBB3_117
.LBB3_122:                              ;   in Loop: Header=BB3_117 Depth=3
                                        ; implicit-def: $vgpr5
	s_branch .LBB3_119
.LBB3_123:                              ;   in Loop: Header=BB3_102 Depth=2
	s_mov_b32 s28, s1
	s_cbranch_execz .LBB3_101
	s_branch .LBB3_147
.LBB3_124:                              ;   in Loop: Header=BB3_102 Depth=2
	s_mov_b32 s40, -1
	s_mov_b32 s1, 0
                                        ; implicit-def: $sgpr31
.LBB3_125:                              ;   in Loop: Header=BB3_102 Depth=2
	s_and_b32 vcc_lo, exec_lo, s40
	s_cbranch_vccz .LBB3_146
.LBB3_126:                              ;   in Loop: Header=BB3_102 Depth=2
	s_ashr_i32 s31, s30, 31
	s_lshl_b64 s[34:35], s[30:31], 2
	s_add_u32 s30, s14, s34
	s_addc_u32 s31, s15, s35
	s_add_u32 s34, s48, s34
	global_load_dword v4, v1, s[30:31]
	s_addc_u32 s35, s49, s35
	global_load_dword v5, v1, s[34:35]
	s_waitcnt vmcnt(1)
	v_mul_f32_e32 v6, 0x4f800000, v4
	v_cmp_gt_f32_e32 vcc_lo, 0xf800000, v4
	v_cndmask_b32_e32 v4, v4, v6, vcc_lo
	v_sqrt_f32_e32 v6, v4
	v_add_nc_u32_e32 v7, -1, v6
	v_add_nc_u32_e32 v8, 1, v6
	v_fma_f32 v9, -v7, v6, v4
	v_fma_f32 v10, -v8, v6, v4
	v_cmp_ge_f32_e64 s1, 0, v9
	v_cndmask_b32_e64 v6, v6, v7, s1
	v_cmp_lt_f32_e64 s1, 0, v10
	v_cndmask_b32_e64 v6, v6, v8, s1
	v_mul_f32_e32 v7, 0x37800000, v6
	v_cndmask_b32_e32 v6, v6, v7, vcc_lo
	v_cmp_class_f32_e64 vcc_lo, v4, 0x260
	s_waitcnt vmcnt(0)
	v_sub_f32_e32 v7, v3, v5
	v_cndmask_b32_e32 v4, v6, v4, vcc_lo
	v_add_f32_e32 v8, v4, v4
	v_cmp_ngt_f32_e64 s1, |v7|, |v8|
	v_and_b32_e32 v9, 0x7fffffff, v8
	s_and_b32 vcc_lo, exec_lo, s1
	s_cbranch_vccz .LBB3_129
; %bb.127:                              ;   in Loop: Header=BB3_102 Depth=2
	v_cmp_nlt_f32_e64 s1, |v7|, |v8|
	s_and_b32 vcc_lo, exec_lo, s1
	s_cbranch_vccz .LBB3_130
; %bb.128:                              ;   in Loop: Header=BB3_102 Depth=2
	v_cvt_f64_f32_e32 v[10:11], v9
	v_mul_f64 v[10:11], v[10:11], s[12:13]
	v_cvt_f32_f64_e32 v6, v[10:11]
	s_cbranch_execz .LBB3_131
	s_branch .LBB3_132
.LBB3_129:                              ;   in Loop: Header=BB3_102 Depth=2
                                        ; implicit-def: $vgpr6
	s_branch .LBB3_133
.LBB3_130:                              ;   in Loop: Header=BB3_102 Depth=2
                                        ; implicit-def: $vgpr6
.LBB3_131:                              ;   in Loop: Header=BB3_102 Depth=2
	v_and_b32_e32 v6, 0x7fffffff, v7
	v_div_scale_f32 v10, null, v9, v9, v6
	v_div_scale_f32 v6, vcc_lo, v6, v9, v6
	v_rcp_f32_e32 v11, v10
	v_fma_f32 v12, -v10, v11, 1.0
	v_fmac_f32_e32 v11, v12, v11
	v_mul_f32_e32 v12, v6, v11
	v_fma_f32 v13, -v10, v12, v6
	v_fmac_f32_e32 v12, v13, v11
	v_fma_f32 v6, -v10, v12, v6
	v_div_fmas_f32 v6, v6, v11, v12
	v_div_fixup_f32 v6, v6, |v8|, |v7|
	v_fma_f32 v6, v6, v6, 1.0
	v_mul_f32_e32 v10, 0x4f800000, v6
	v_cmp_gt_f32_e32 vcc_lo, 0xf800000, v6
	v_cndmask_b32_e32 v6, v6, v10, vcc_lo
	v_sqrt_f32_e32 v10, v6
	v_add_nc_u32_e32 v11, -1, v10
	v_add_nc_u32_e32 v12, 1, v10
	v_fma_f32 v13, -v11, v10, v6
	v_fma_f32 v14, -v12, v10, v6
	v_cmp_ge_f32_e64 s1, 0, v13
	v_cndmask_b32_e64 v10, v10, v11, s1
	v_cmp_lt_f32_e64 s1, 0, v14
	v_cndmask_b32_e64 v10, v10, v12, s1
	v_mul_f32_e32 v11, 0x37800000, v10
	v_cndmask_b32_e32 v10, v10, v11, vcc_lo
	v_cmp_class_f32_e64 vcc_lo, v6, 0x260
	v_cndmask_b32_e32 v6, v10, v6, vcc_lo
	v_mul_f32_e64 v6, |v8|, v6
.LBB3_132:                              ;   in Loop: Header=BB3_102 Depth=2
	s_cbranch_execnz .LBB3_134
.LBB3_133:                              ;   in Loop: Header=BB3_102 Depth=2
	v_and_b32_e32 v6, 0x7fffffff, v7
	v_div_scale_f32 v10, null, v6, v6, v9
	v_div_scale_f32 v6, vcc_lo, v9, v6, v9
	v_rcp_f32_e32 v11, v10
	v_fma_f32 v12, -v10, v11, 1.0
	v_fmac_f32_e32 v11, v12, v11
	v_mul_f32_e32 v9, v6, v11
	v_fma_f32 v12, -v10, v9, v6
	v_fmac_f32_e32 v9, v12, v11
	v_fma_f32 v6, -v10, v9, v6
	v_div_fmas_f32 v6, v6, v11, v9
	v_div_fixup_f32 v6, v6, |v7|, |v8|
	v_fma_f32 v6, v6, v6, 1.0
	v_mul_f32_e32 v8, 0x4f800000, v6
	v_cmp_gt_f32_e32 vcc_lo, 0xf800000, v6
	v_cndmask_b32_e32 v6, v6, v8, vcc_lo
	v_sqrt_f32_e32 v8, v6
	v_add_nc_u32_e32 v9, -1, v8
	v_add_nc_u32_e32 v10, 1, v8
	v_fma_f32 v11, -v9, v8, v6
	v_fma_f32 v12, -v10, v8, v6
	v_cmp_ge_f32_e64 s1, 0, v11
	v_cndmask_b32_e64 v8, v8, v9, s1
	v_cmp_lt_f32_e64 s1, 0, v12
	v_cndmask_b32_e64 v8, v8, v10, s1
	v_mul_f32_e32 v9, 0x37800000, v8
	v_cndmask_b32_e32 v8, v8, v9, vcc_lo
	v_cmp_class_f32_e64 vcc_lo, v6, 0x260
	v_cndmask_b32_e32 v6, v8, v6, vcc_lo
	v_mul_f32_e64 v6, |v7|, v6
.LBB3_134:                              ;   in Loop: Header=BB3_102 Depth=2
	v_add_f32_e32 v8, v3, v5
	v_cmp_gt_f32_e64 vcc_lo, |v3|, |v5|
	v_cmp_ngt_f32_e64 s1, 0, v8
	v_cndmask_b32_e32 v7, v3, v5, vcc_lo
	v_cndmask_b32_e32 v5, v5, v3, vcc_lo
	s_and_b32 vcc_lo, exec_lo, s1
	s_cbranch_vccz .LBB3_137
; %bb.135:                              ;   in Loop: Header=BB3_102 Depth=2
	v_cmp_nlt_f32_e32 vcc_lo, 0, v8
	s_cbranch_vccz .LBB3_138
; %bb.136:                              ;   in Loop: Header=BB3_102 Depth=2
	v_mul_f32_e32 v3, 0.5, v6
	v_mul_f32_e32 v9, -0.5, v6
	s_cbranch_execz .LBB3_139
	s_branch .LBB3_140
.LBB3_137:                              ;   in Loop: Header=BB3_102 Depth=2
                                        ; implicit-def: $vgpr9
                                        ; implicit-def: $vgpr3
	s_branch .LBB3_141
.LBB3_138:                              ;   in Loop: Header=BB3_102 Depth=2
                                        ; implicit-def: $vgpr9
                                        ; implicit-def: $vgpr3
.LBB3_139:                              ;   in Loop: Header=BB3_102 Depth=2
	v_add_f32_e32 v3, v8, v6
	v_cvt_f64_f32_e32 v[9:10], v5
	v_cvt_f64_f32_e32 v[13:14], v4
	v_mul_f32_e32 v3, 0.5, v3
	v_cvt_f64_f32_e32 v[11:12], v3
	v_div_scale_f64 v[15:16], null, v[11:12], v[11:12], v[9:10]
	v_div_scale_f64 v[17:18], null, v[11:12], v[11:12], v[13:14]
	v_div_scale_f64 v[27:28], vcc_lo, v[9:10], v[11:12], v[9:10]
	v_rcp_f64_e32 v[19:20], v[15:16]
	v_rcp_f64_e32 v[21:22], v[17:18]
	v_fma_f64 v[23:24], -v[15:16], v[19:20], 1.0
	v_fma_f64 v[25:26], -v[17:18], v[21:22], 1.0
	v_fma_f64 v[19:20], v[19:20], v[23:24], v[19:20]
	v_fma_f64 v[21:22], v[21:22], v[25:26], v[21:22]
	v_fma_f64 v[23:24], -v[15:16], v[19:20], 1.0
	v_fma_f64 v[25:26], -v[17:18], v[21:22], 1.0
	v_fma_f64 v[19:20], v[19:20], v[23:24], v[19:20]
	v_div_scale_f64 v[23:24], s1, v[13:14], v[11:12], v[13:14]
	v_fma_f64 v[21:22], v[21:22], v[25:26], v[21:22]
	v_mul_f64 v[25:26], v[27:28], v[19:20]
	v_mul_f64 v[29:30], v[23:24], v[21:22]
	v_fma_f64 v[15:16], -v[15:16], v[25:26], v[27:28]
	v_fma_f64 v[17:18], -v[17:18], v[29:30], v[23:24]
	v_div_fmas_f64 v[15:16], v[15:16], v[19:20], v[25:26]
	s_mov_b32 vcc_lo, s1
	v_div_fmas_f64 v[17:18], v[17:18], v[21:22], v[29:30]
	v_div_fixup_f64 v[9:10], v[15:16], v[11:12], v[9:10]
	v_div_fixup_f64 v[17:18], v[17:18], v[11:12], v[13:14]
	v_cvt_f64_f32_e32 v[11:12], v7
	v_mul_f64 v[13:14], v[17:18], v[13:14]
	v_fma_f64 v[9:10], v[9:10], v[11:12], -v[13:14]
	v_cvt_f32_f64_e32 v9, v[9:10]
.LBB3_140:                              ;   in Loop: Header=BB3_102 Depth=2
	s_cbranch_execnz .LBB3_142
.LBB3_141:                              ;   in Loop: Header=BB3_102 Depth=2
	v_sub_f32_e32 v3, v8, v6
	v_cvt_f64_f32_e32 v[5:6], v5
	v_cvt_f64_f32_e32 v[10:11], v4
	v_mul_f32_e32 v3, 0.5, v3
	v_cvt_f64_f32_e32 v[8:9], v3
	v_div_scale_f64 v[12:13], null, v[8:9], v[8:9], v[5:6]
	v_div_scale_f64 v[14:15], null, v[8:9], v[8:9], v[10:11]
	v_div_scale_f64 v[24:25], vcc_lo, v[5:6], v[8:9], v[5:6]
	v_rcp_f64_e32 v[16:17], v[12:13]
	v_rcp_f64_e32 v[18:19], v[14:15]
	v_fma_f64 v[20:21], -v[12:13], v[16:17], 1.0
	v_fma_f64 v[22:23], -v[14:15], v[18:19], 1.0
	v_fma_f64 v[16:17], v[16:17], v[20:21], v[16:17]
	v_fma_f64 v[18:19], v[18:19], v[22:23], v[18:19]
	v_fma_f64 v[20:21], -v[12:13], v[16:17], 1.0
	v_fma_f64 v[22:23], -v[14:15], v[18:19], 1.0
	v_fma_f64 v[16:17], v[16:17], v[20:21], v[16:17]
	v_div_scale_f64 v[20:21], s1, v[10:11], v[8:9], v[10:11]
	v_fma_f64 v[18:19], v[18:19], v[22:23], v[18:19]
	v_mul_f64 v[22:23], v[24:25], v[16:17]
	v_mul_f64 v[26:27], v[20:21], v[18:19]
	v_fma_f64 v[12:13], -v[12:13], v[22:23], v[24:25]
	v_fma_f64 v[14:15], -v[14:15], v[26:27], v[20:21]
	v_div_fmas_f64 v[12:13], v[12:13], v[16:17], v[22:23]
	s_mov_b32 vcc_lo, s1
	v_div_fmas_f64 v[14:15], v[14:15], v[18:19], v[26:27]
	v_div_fixup_f64 v[4:5], v[12:13], v[8:9], v[5:6]
	v_cvt_f64_f32_e32 v[6:7], v7
	v_div_fixup_f64 v[14:15], v[14:15], v[8:9], v[10:11]
	v_mul_f64 v[8:9], v[14:15], v[10:11]
	v_fma_f64 v[4:5], v[4:5], v[6:7], -v[8:9]
	v_cvt_f32_f64_e32 v9, v[4:5]
.LBB3_142:                              ;   in Loop: Header=BB3_102 Depth=2
	global_store_dword v1, v3, s[2:3]
	global_store_dword v1, v9, s[34:35]
	s_add_i32 s28, s28, -2
	global_store_dword v1, v1, s[30:31]
	s_cbranch_execz .LBB3_101
	s_branch .LBB3_147
.LBB3_143:                              ;   in Loop: Header=BB3_102 Depth=2
	v_mov_b32_e32 v7, v9
.LBB3_144:                              ;   in Loop: Header=BB3_102 Depth=2
	v_mov_b32_e32 v8, v5
.LBB3_145:                              ;   in Loop: Header=BB3_102 Depth=2
	v_mul_f32_e32 v5, v8, v6
	v_add_f32_e32 v4, v4, v7
	s_add_i32 s31, s62, 1
	s_mov_b32 s1, -1
	global_store_dword v1, v5, s[34:35] offset:-4
	global_store_dword v1, v4, s[2:3]
	s_and_b32 vcc_lo, exec_lo, s40
	s_cbranch_vccnz .LBB3_126
.LBB3_146:                              ;   in Loop: Header=BB3_102 Depth=2
	s_mov_b32 s62, s31
	s_and_b32 vcc_lo, exec_lo, s1
	s_cbranch_vccz .LBB3_101
.LBB3_147:                              ;   in Loop: Header=BB3_102 Depth=2
	s_cmp_lt_i32 s28, s23
	s_cselect_b32 s1, -1, 0
	s_cmp_ge_i32 s62, s16
	s_cselect_b32 s2, -1, 0
	s_or_b32 s29, s1, s2
	s_branch .LBB3_101
.LBB3_148:
	s_cmp_lt_i32 s33, 2
	s_cbranch_scc1 .LBB3_159
; %bb.149:
	s_load_dwordx2 s[0:1], s[4:5], 0x28
	s_lshl_b64 s[2:3], s[6:7], 2
	v_mov_b32_e32 v0, 0
	s_waitcnt lgkmcnt(0)
	s_add_u32 s0, s0, s2
	s_addc_u32 s1, s1, s3
	s_mov_b32 s2, 1
	s_branch .LBB3_151
.LBB3_150:                              ;   in Loop: Header=BB3_151 Depth=1
	s_add_i32 s2, s2, 1
	s_add_u32 s14, s14, 4
	s_addc_u32 s15, s15, 0
	s_cmp_lg_u32 s33, s2
	s_cbranch_scc0 .LBB3_153
.LBB3_151:                              ; =>This Inner Loop Header: Depth=1
	global_load_dword v1, v0, s[14:15]
	s_waitcnt vmcnt(0)
	v_cmp_eq_f32_e32 vcc_lo, 0, v1
	s_cbranch_vccnz .LBB3_150
; %bb.152:                              ;   in Loop: Header=BB3_151 Depth=1
	global_load_dword v1, v0, s[0:1]
	s_waitcnt vmcnt(0)
	v_add_nc_u32_e32 v1, 1, v1
	global_store_dword v0, v1, s[0:1]
	s_branch .LBB3_150
.LBB3_153:
	s_add_u32 s0, s8, s10
	v_mov_b32_e32 v0, 0
	s_addc_u32 s1, s9, s11
	s_add_u32 s0, s0, 4
	s_addc_u32 s1, s1, 0
	s_mov_b32 s2, 1
	s_inst_prefetch 0x1
	s_branch .LBB3_155
	.p2align	6
.LBB3_154:                              ;   in Loop: Header=BB3_155 Depth=1
	s_add_i32 s2, s2, 1
	s_add_u32 s0, s0, 4
	s_addc_u32 s1, s1, 0
	s_cmp_lg_u32 s2, s33
	s_cbranch_scc0 .LBB3_159
.LBB3_155:                              ; =>This Loop Header: Depth=1
                                        ;     Child Loop BB3_156 Depth 2
	s_ashr_i32 s3, s2, 31
	s_mov_b64 s[8:9], s[0:1]
	s_lshl_b64 s[4:5], s[2:3], 2
	s_add_i32 s3, s2, -1
	s_add_u32 s4, s48, s4
	s_addc_u32 s5, s49, s5
	s_mov_b32 s7, s2
	global_load_dword v1, v0, s[4:5] offset:-4
	s_mov_b32 s6, s3
	s_waitcnt vmcnt(0)
	v_mov_b32_e32 v2, v1
.LBB3_156:                              ;   Parent Loop BB3_155 Depth=1
                                        ; =>  This Inner Loop Header: Depth=2
	global_load_dword v3, v0, s[8:9]
	s_waitcnt vmcnt(0)
	v_cmp_lt_f32_e32 vcc_lo, v3, v2
	s_and_b32 s10, vcc_lo, exec_lo
	v_cndmask_b32_e32 v2, v2, v3, vcc_lo
	s_cselect_b32 s6, s7, s6
	s_add_i32 s7, s7, 1
	s_add_u32 s8, s8, 4
	s_addc_u32 s9, s9, 0
	s_cmp_eq_u32 s33, s7
	s_cbranch_scc0 .LBB3_156
; %bb.157:                              ;   in Loop: Header=BB3_155 Depth=1
	s_cmp_lg_u32 s6, s3
	s_cbranch_scc0 .LBB3_154
; %bb.158:                              ;   in Loop: Header=BB3_155 Depth=1
	s_ashr_i32 s7, s6, 31
	s_lshl_b64 s[6:7], s[6:7], 2
	s_add_u32 s6, s48, s6
	s_addc_u32 s7, s49, s7
	global_store_dword v0, v1, s[6:7]
	global_store_dword v0, v2, s[4:5] offset:-4
	s_branch .LBB3_154
.LBB3_159:
	s_inst_prefetch 0x2
	s_endpgm
	.section	.rodata,"a",@progbits
	.p2align	6, 0x0
	.amdhsa_kernel _ZN9rocsolver6v33100L12sterf_kernelIfEEviPT_lS3_lPiS4_iS2_S2_S2_
		.amdhsa_group_segment_fixed_size 0
		.amdhsa_private_segment_fixed_size 0
		.amdhsa_kernarg_size 72
		.amdhsa_user_sgpr_count 6
		.amdhsa_user_sgpr_private_segment_buffer 1
		.amdhsa_user_sgpr_dispatch_ptr 0
		.amdhsa_user_sgpr_queue_ptr 0
		.amdhsa_user_sgpr_kernarg_segment_ptr 1
		.amdhsa_user_sgpr_dispatch_id 0
		.amdhsa_user_sgpr_flat_scratch_init 0
		.amdhsa_user_sgpr_private_segment_size 0
		.amdhsa_wavefront_size32 1
		.amdhsa_uses_dynamic_stack 0
		.amdhsa_system_sgpr_private_segment_wavefront_offset 0
		.amdhsa_system_sgpr_workgroup_id_x 1
		.amdhsa_system_sgpr_workgroup_id_y 0
		.amdhsa_system_sgpr_workgroup_id_z 0
		.amdhsa_system_sgpr_workgroup_info 0
		.amdhsa_system_vgpr_workitem_id 0
		.amdhsa_next_free_vgpr 31
		.amdhsa_next_free_sgpr 64
		.amdhsa_reserve_vcc 1
		.amdhsa_reserve_flat_scratch 0
		.amdhsa_float_round_mode_32 0
		.amdhsa_float_round_mode_16_64 0
		.amdhsa_float_denorm_mode_32 3
		.amdhsa_float_denorm_mode_16_64 3
		.amdhsa_dx10_clamp 1
		.amdhsa_ieee_mode 1
		.amdhsa_fp16_overflow 0
		.amdhsa_workgroup_processor_mode 1
		.amdhsa_memory_ordered 1
		.amdhsa_forward_progress 1
		.amdhsa_shared_vgpr_count 0
		.amdhsa_exception_fp_ieee_invalid_op 0
		.amdhsa_exception_fp_denorm_src 0
		.amdhsa_exception_fp_ieee_div_zero 0
		.amdhsa_exception_fp_ieee_overflow 0
		.amdhsa_exception_fp_ieee_underflow 0
		.amdhsa_exception_fp_ieee_inexact 0
		.amdhsa_exception_int_div_zero 0
	.end_amdhsa_kernel
	.section	.text._ZN9rocsolver6v33100L12sterf_kernelIfEEviPT_lS3_lPiS4_iS2_S2_S2_,"axG",@progbits,_ZN9rocsolver6v33100L12sterf_kernelIfEEviPT_lS3_lPiS4_iS2_S2_S2_,comdat
.Lfunc_end3:
	.size	_ZN9rocsolver6v33100L12sterf_kernelIfEEviPT_lS3_lPiS4_iS2_S2_S2_, .Lfunc_end3-_ZN9rocsolver6v33100L12sterf_kernelIfEEviPT_lS3_lPiS4_iS2_S2_S2_
                                        ; -- End function
	.set _ZN9rocsolver6v33100L12sterf_kernelIfEEviPT_lS3_lPiS4_iS2_S2_S2_.num_vgpr, 31
	.set _ZN9rocsolver6v33100L12sterf_kernelIfEEviPT_lS3_lPiS4_iS2_S2_S2_.num_agpr, 0
	.set _ZN9rocsolver6v33100L12sterf_kernelIfEEviPT_lS3_lPiS4_iS2_S2_S2_.numbered_sgpr, 64
	.set _ZN9rocsolver6v33100L12sterf_kernelIfEEviPT_lS3_lPiS4_iS2_S2_S2_.num_named_barrier, 0
	.set _ZN9rocsolver6v33100L12sterf_kernelIfEEviPT_lS3_lPiS4_iS2_S2_S2_.private_seg_size, 0
	.set _ZN9rocsolver6v33100L12sterf_kernelIfEEviPT_lS3_lPiS4_iS2_S2_S2_.uses_vcc, 1
	.set _ZN9rocsolver6v33100L12sterf_kernelIfEEviPT_lS3_lPiS4_iS2_S2_S2_.uses_flat_scratch, 0
	.set _ZN9rocsolver6v33100L12sterf_kernelIfEEviPT_lS3_lPiS4_iS2_S2_S2_.has_dyn_sized_stack, 0
	.set _ZN9rocsolver6v33100L12sterf_kernelIfEEviPT_lS3_lPiS4_iS2_S2_S2_.has_recursion, 0
	.set _ZN9rocsolver6v33100L12sterf_kernelIfEEviPT_lS3_lPiS4_iS2_S2_S2_.has_indirect_call, 0
	.section	.AMDGPU.csdata,"",@progbits
; Kernel info:
; codeLenInByte = 8104
; TotalNumSgprs: 66
; NumVgprs: 31
; ScratchSize: 0
; MemoryBound: 0
; FloatMode: 240
; IeeeMode: 1
; LDSByteSize: 0 bytes/workgroup (compile time only)
; SGPRBlocks: 0
; VGPRBlocks: 3
; NumSGPRsForWavesPerEU: 66
; NumVGPRsForWavesPerEU: 31
; Occupancy: 16
; WaveLimiterHint : 0
; COMPUTE_PGM_RSRC2:SCRATCH_EN: 0
; COMPUTE_PGM_RSRC2:USER_SGPR: 6
; COMPUTE_PGM_RSRC2:TRAP_HANDLER: 0
; COMPUTE_PGM_RSRC2:TGID_X_EN: 1
; COMPUTE_PGM_RSRC2:TGID_Y_EN: 0
; COMPUTE_PGM_RSRC2:TGID_Z_EN: 0
; COMPUTE_PGM_RSRC2:TIDIG_COMP_CNT: 0
	.section	.text._ZN9rocsolver6v33100L11lasr_kernelIffPfiEEv13rocblas_side_14rocblas_pivot_15rocblas_direct_T2_S6_PT0_lS8_lT1_lS6_lS6_,"axG",@progbits,_ZN9rocsolver6v33100L11lasr_kernelIffPfiEEv13rocblas_side_14rocblas_pivot_15rocblas_direct_T2_S6_PT0_lS8_lT1_lS6_lS6_,comdat
	.globl	_ZN9rocsolver6v33100L11lasr_kernelIffPfiEEv13rocblas_side_14rocblas_pivot_15rocblas_direct_T2_S6_PT0_lS8_lT1_lS6_lS6_ ; -- Begin function _ZN9rocsolver6v33100L11lasr_kernelIffPfiEEv13rocblas_side_14rocblas_pivot_15rocblas_direct_T2_S6_PT0_lS8_lT1_lS6_lS6_
	.p2align	8
	.type	_ZN9rocsolver6v33100L11lasr_kernelIffPfiEEv13rocblas_side_14rocblas_pivot_15rocblas_direct_T2_S6_PT0_lS8_lT1_lS6_lS6_,@function
_ZN9rocsolver6v33100L11lasr_kernelIffPfiEEv13rocblas_side_14rocblas_pivot_15rocblas_direct_T2_S6_PT0_lS8_lT1_lS6_lS6_: ; @_ZN9rocsolver6v33100L11lasr_kernelIffPfiEEv13rocblas_side_14rocblas_pivot_15rocblas_direct_T2_S6_PT0_lS8_lT1_lS6_lS6_
; %bb.0:
	s_load_dword s33, s[4:5], 0x58
	s_waitcnt lgkmcnt(0)
	s_cmp_ge_u32 s7, s33
	s_cbranch_scc1 .LBB4_108
; %bb.1:
	s_clause 0x6
	s_load_dword s20, s[4:5], 0x48
	s_load_dwordx4 s[16:19], s[4:5], 0x38
	s_load_dwordx2 s[22:23], s[4:5], 0x68
	s_load_dwordx4 s[0:3], s[4:5], 0x0
	s_load_dword s24, s[4:5], 0x60
	s_load_dword s56, s[4:5], 0x10
	s_load_dwordx8 s[8:15], s[4:5], 0x18
	v_mov_b32_e32 v34, 0
	s_waitcnt lgkmcnt(0)
	s_ashr_i32 s21, s20, 31
	s_lshl_b64 s[38:39], s[18:19], 2
	s_and_b32 s25, s23, 0xffff
	s_add_u32 s23, s16, s38
	s_addc_u32 s57, s17, s39
	s_cmpk_eq_i32 s0, 0x8d
	s_load_dwordx2 s[18:19], s[4:5], 0x50
	s_cselect_b32 s26, -1, 0
	s_cmpk_eq_i32 s0, 0x8e
	v_mad_u64_u32 v[0:1], null, s6, s25, v[0:1]
	s_cselect_b32 s27, -1, 0
	s_cmpk_eq_i32 s1, 0x119
	s_mul_i32 s4, s24, s25
	s_cselect_b32 s0, -1, 0
	s_cmpk_eq_i32 s1, 0x11b
	s_cselect_b32 s28, -1, 0
	s_cmpk_eq_i32 s1, 0x11a
	v_ashrrev_i32_e32 v1, 31, v0
	s_cselect_b32 s1, -1, 0
	s_cmpk_eq_i32 s2, 0xab
	v_mad_i64_i32 v[3:4], null, s20, v0, 0
	s_cselect_b32 s5, -1, 0
	s_cmpk_eq_i32 s2, 0xac
	v_lshlrev_b64 v[1:2], 2, v[0:1]
	s_cselect_b32 s2, -1, 0
	s_and_b32 s24, s26, s1
	s_and_b32 s6, s26, s0
	;; [unrolled: 1-line block ×7, first 2 shown]
	s_xor_b32 s60, s24, -1
	s_and_b32 s24, s25, s2
	s_and_b32 s25, s0, s5
	;; [unrolled: 1-line block ×4, first 2 shown]
	s_xor_b32 s64, s0, -1
	v_cmp_gt_i32_e64 s0, s3, v0
	s_xor_b32 s62, s24, -1
	s_and_b32 s24, s1, s5
	s_and_b32 s1, s1, s2
	s_xor_b32 s65, s24, -1
	s_and_b32 s24, s27, s28
	s_and_b32 s26, s6, s5
	;; [unrolled: 1-line block ×3, first 2 shown]
	s_xor_b32 s66, s1, -1
	s_and_b32 s1, s24, s5
	s_and_b32 s2, s2, s0
	s_xor_b32 s6, s26, -1
	s_xor_b32 s58, s29, -1
	s_xor_b32 s59, s30, -1
	s_xor_b32 s61, s31, -1
	s_xor_b32 s63, s25, -1
	s_xor_b32 s67, s1, -1
	s_and_b32 s68, s24, s2
	s_add_i32 s69, s56, -1
	s_add_i32 s24, s56, -2
	s_cmp_gt_i32 s56, 1
	s_mov_b32 s25, 0
	s_cselect_b32 s70, -1, 0
	s_ashr_i32 s29, s3, 31
	s_add_i32 s40, s3, -2
	s_cmp_gt_i32 s3, 1
	s_mul_i32 s2, s21, s24
	s_cselect_b32 s71, -1, 0
	s_lshl_b64 s[30:31], s[24:25], 2
	s_mul_hi_u32 s5, s20, s24
	s_add_u32 s72, s8, s30
	s_addc_u32 s73, s9, s31
	s_lshl_b64 s[10:11], s[10:11], 2
	s_add_u32 s74, s12, s30
	s_addc_u32 s75, s13, s31
	s_add_i32 s31, s5, s2
	s_mul_i32 s30, s20, s24
	s_lshl_b64 s[14:15], s[14:15], 2
	s_lshl_b64 s[30:31], s[30:31], 2
	s_mul_i32 s26, s20, s69
	s_add_u32 s2, s30, s38
	s_addc_u32 s5, s31, s39
	s_add_u32 s2, s16, s2
	s_addc_u32 s5, s17, s5
	v_add_co_u32 v16, vcc_lo, s2, v1
	v_add_co_ci_u32_e64 v17, null, s5, v2, vcc_lo
	s_ashr_i32 s5, s4, 31
	s_lshl_b64 s[34:35], s[20:21], 2
	s_waitcnt lgkmcnt(0)
	s_lshl_b64 s[30:31], s[18:19], 2
	s_lshl_b64 s[36:37], s[4:5], 2
	s_mul_i32 s2, s21, s69
	s_mul_hi_u32 s24, s20, s69
	s_sub_u32 s5, 0, s34
	s_subb_u32 s21, 0, s35
	s_add_i32 s43, s24, s2
	s_mov_b32 s42, s26
	s_add_i32 s76, s56, 1
	s_lshl_b64 s[42:43], s[42:43], 2
	v_add_co_u32 v18, vcc_lo, s23, v1
	s_add_u32 s2, s42, s38
	s_addc_u32 s24, s43, s39
	s_add_u32 s2, s16, s2
	v_add_co_ci_u32_e64 v19, null, s57, v2, vcc_lo
	s_addc_u32 s24, s17, s24
	v_add_co_u32 v20, vcc_lo, s2, v1
	s_add_u32 s2, s38, s34
	v_add_co_ci_u32_e64 v21, null, s24, v2, vcc_lo
	s_addc_u32 s24, s39, s35
	s_add_u32 s2, s16, s2
	s_addc_u32 s24, s17, s24
	v_add_co_u32 v22, vcc_lo, s2, v1
	v_add_co_ci_u32_e64 v23, null, s24, v2, vcc_lo
	v_lshlrev_b64 v[1:2], 2, v[3:4]
	s_mov_b32 s41, s25
	s_add_i32 s24, s3, -1
	s_lshl_b64 s[40:41], s[40:41], 2
	v_cmp_gt_i32_e64 s1, s56, v0
	s_add_u32 s77, s8, s40
	s_addc_u32 s78, s9, s41
	v_add_co_u32 v1, vcc_lo, v1, s38
	s_add_u32 s79, s12, s40
	s_addc_u32 s80, s13, s41
	v_add_co_ci_u32_e64 v2, null, s39, v2, vcc_lo
	s_add_u32 s2, s16, s40
	s_addc_u32 s27, s17, s41
	s_mul_hi_i32 s39, s20, s4
	s_mul_i32 s38, s20, s4
	v_add_co_u32 v24, vcc_lo, s2, v1
	s_lshl_b64 s[40:41], s[24:25], 2
	v_add_co_ci_u32_e64 v25, null, s27, v2, vcc_lo
	s_lshl_b64 s[38:39], s[38:39], 2
	v_add_co_u32 v26, vcc_lo, s16, v1
	s_add_i32 s25, s3, 1
	s_add_u32 s2, s16, s40
	v_add_co_ci_u32_e64 v27, null, s17, v2, vcc_lo
	s_addc_u32 s16, s17, s41
	v_add_co_u32 v28, vcc_lo, s2, v1
	v_add_co_ci_u32_e64 v29, null, s16, v2, vcc_lo
	v_add_co_u32 v30, vcc_lo, v26, 4
	v_add_co_ci_u32_e64 v31, null, 0, v27, vcc_lo
	;; [unrolled: 2-line block ×3, first 2 shown]
	s_mul_hi_i32 s27, s20, s69
	s_mov_b32 s28, s3
	s_branch .LBB4_4
.LBB4_2:                                ;   in Loop: Header=BB4_4 Depth=1
	s_or_b32 exec_lo, exec_lo, s46
.LBB4_3:                                ;   in Loop: Header=BB4_4 Depth=1
	s_add_i32 s7, s7, s22
	s_cmp_ge_u32 s7, s33
	s_cbranch_scc1 .LBB4_108
.LBB4_4:                                ; =>This Loop Header: Depth=1
                                        ;     Child Loop BB4_19 Depth 2
                                        ;       Child Loop BB4_20 Depth 3
                                        ;     Child Loop BB4_26 Depth 2
                                        ;       Child Loop BB4_27 Depth 3
	;; [unrolled: 2-line block ×12, first 2 shown]
	s_mul_i32 s2, s31, s7
	s_mul_hi_u32 s16, s30, s7
	s_mul_hi_u32 s17, s10, s7
	s_add_i32 s83, s16, s2
	s_mul_i32 s16, s11, s7
	s_mul_i32 s2, s10, s7
	s_add_i32 s47, s17, s16
	s_mul_i32 s40, s15, s7
	s_mul_hi_u32 s41, s14, s7
	s_add_u32 s16, s8, s2
	s_mul_i32 s48, s14, s7
	s_addc_u32 s17, s9, s47
	s_add_i32 s49, s41, s40
	s_mul_i32 s42, s19, s7
	s_mul_hi_u32 s43, s18, s7
	s_mul_i32 s84, s30, s7
	s_add_u32 s40, s12, s48
	s_addc_u32 s41, s13, s49
	s_add_i32 s43, s43, s42
	s_mul_i32 s42, s18, s7
	v_add_co_u32 v1, vcc_lo, v30, s84
	s_lshl_b64 s[42:43], s[42:43], 2
	v_add_co_ci_u32_e64 v2, null, s83, v31, vcc_lo
	s_add_u32 s81, s23, s42
	s_addc_u32 s82, s57, s43
	s_and_b32 vcc_lo, exec_lo, s6
	s_mov_b32 s42, -1
	s_cbranch_vccnz .LBB4_6
; %bb.5:                                ;   in Loop: Header=BB4_4 Depth=1
	s_andn2_b32 vcc_lo, exec_lo, s42
	s_cbranch_vccnz .LBB4_3
	s_branch .LBB4_103
.LBB4_6:                                ;   in Loop: Header=BB4_4 Depth=1
	s_add_u32 s42, s77, s2
	s_addc_u32 s43, s78, s47
	s_add_u32 s44, s79, s48
	s_addc_u32 s45, s80, s49
	s_and_b32 vcc_lo, exec_lo, s58
	s_mov_b32 s46, -1
	s_cbranch_vccz .LBB4_95
; %bb.7:                                ;   in Loop: Header=BB4_4 Depth=1
	s_and_b32 vcc_lo, exec_lo, s59
	s_cbranch_vccz .LBB4_87
; %bb.8:                                ;   in Loop: Header=BB4_4 Depth=1
	s_and_b32 vcc_lo, exec_lo, s60
	;; [unrolled: 3-line block ×3, first 2 shown]
	s_cbranch_vccz .LBB4_71
; %bb.10:                               ;   in Loop: Header=BB4_4 Depth=1
	s_and_b32 vcc_lo, exec_lo, s62
	s_cbranch_vccz .LBB4_63
; %bb.11:                               ;   in Loop: Header=BB4_4 Depth=1
	v_add_co_u32 v3, vcc_lo, v18, s84
	v_add_co_ci_u32_e64 v4, null, s83, v19, vcc_lo
	s_and_b32 vcc_lo, exec_lo, s63
	s_cbranch_vccz .LBB4_55
; %bb.12:                               ;   in Loop: Header=BB4_4 Depth=1
	v_add_co_u32 v5, vcc_lo, v20, s84
	v_add_co_ci_u32_e64 v6, null, s83, v21, vcc_lo
	v_add_co_u32 v7, vcc_lo, v16, s84
	s_add_u32 s46, s72, s2
	v_add_co_ci_u32_e64 v8, null, s83, v17, vcc_lo
	s_addc_u32 s47, s73, s47
	s_add_u32 s48, s74, s48
	s_addc_u32 s49, s75, s49
	s_and_b32 vcc_lo, exec_lo, s64
	s_mov_b32 s2, -1
	s_cbranch_vccz .LBB4_46
; %bb.13:                               ;   in Loop: Header=BB4_4 Depth=1
	s_and_b32 vcc_lo, exec_lo, s65
	s_cbranch_vccz .LBB4_38
; %bb.14:                               ;   in Loop: Header=BB4_4 Depth=1
	s_and_b32 vcc_lo, exec_lo, s66
	s_cbranch_vccz .LBB4_30
; %bb.15:                               ;   in Loop: Header=BB4_4 Depth=1
	s_and_b32 vcc_lo, exec_lo, s67
	s_cbranch_vccz .LBB4_22
; %bb.16:                               ;   in Loop: Header=BB4_4 Depth=1
	s_and_saveexec_b32 s54, s68
	s_cbranch_execz .LBB4_21
; %bb.17:                               ;   in Loop: Header=BB4_4 Depth=1
	v_mov_b32_e32 v10, v8
	s_lshl_b64 s[50:51], s[26:27], 2
	v_mov_b32_e32 v9, v7
	v_mov_b32_e32 v11, v0
	s_add_u32 s55, s81, s50
	s_addc_u32 s85, s82, s51
	s_mov_b32 s86, 0
	s_branch .LBB4_19
.LBB4_18:                               ;   in Loop: Header=BB4_19 Depth=2
	v_add_nc_u32_e32 v11, s4, v11
	v_add_co_u32 v9, s2, v9, s36
	v_add_co_ci_u32_e64 v10, null, s37, v10, s2
	v_cmp_le_i32_e32 vcc_lo, s3, v11
	s_waitcnt vmcnt(0)
	global_store_dword v[12:13], v35, off
	s_or_b32 s86, vcc_lo, s86
	s_andn2_b32 exec_lo, exec_lo, s86
	s_cbranch_execz .LBB4_21
.LBB4_19:                               ;   Parent Loop BB4_4 Depth=1
                                        ; =>  This Loop Header: Depth=2
                                        ;       Child Loop BB4_20 Depth 3
	v_ashrrev_i32_e32 v12, 31, v11
	v_mov_b32_e32 v15, v10
	v_mov_b32_e32 v14, v9
	s_mov_b64 s[50:51], s[48:49]
	s_mov_b64 s[52:53], s[46:47]
	v_lshlrev_b64 v[12:13], 2, v[11:12]
	s_mov_b32 s2, s69
	v_add_co_u32 v12, vcc_lo, s55, v12
	v_add_co_ci_u32_e64 v13, null, s85, v13, vcc_lo
	s_andn2_b32 vcc_lo, exec_lo, s70
	global_load_dword v35, v[12:13], off
	s_cbranch_vccnz .LBB4_18
	.p2align	6
.LBB4_20:                               ;   Parent Loop BB4_4 Depth=1
                                        ;     Parent Loop BB4_19 Depth=2
                                        ; =>    This Inner Loop Header: Depth=3
	global_load_dword v36, v[14:15], off
	s_clause 0x1
	global_load_dword v37, v34, s[52:53]
	global_load_dword v38, v34, s[50:51]
	s_add_i32 s2, s2, -1
	s_add_u32 s52, s52, -4
	s_addc_u32 s53, s53, -1
	s_add_u32 s50, s50, -4
	s_addc_u32 s51, s51, -1
	s_cmp_eq_u32 s2, 0
	s_waitcnt vmcnt(1)
	v_mul_f32_e32 v39, v37, v36
	s_waitcnt vmcnt(0)
	v_mul_f32_e32 v36, v38, v36
	v_fmac_f32_e32 v39, v35, v38
	v_fma_f32 v35, v35, v37, -v36
	global_store_dword v[14:15], v39, off
	v_add_co_u32 v14, vcc_lo, v14, s5
	v_add_co_ci_u32_e64 v15, null, s21, v15, vcc_lo
	s_cbranch_scc0 .LBB4_20
	s_branch .LBB4_18
.LBB4_21:                               ;   in Loop: Header=BB4_4 Depth=1
	s_or_b32 exec_lo, exec_lo, s54
	s_mov_b32 s2, 0
.LBB4_22:                               ;   in Loop: Header=BB4_4 Depth=1
	s_andn2_b32 vcc_lo, exec_lo, s2
	s_cbranch_vccnz .LBB4_29
; %bb.23:                               ;   in Loop: Header=BB4_4 Depth=1
	s_and_saveexec_b32 s54, s0
	s_cbranch_execz .LBB4_28
; %bb.24:                               ;   in Loop: Header=BB4_4 Depth=1
	v_mov_b32_e32 v10, v4
	s_lshl_b64 s[50:51], s[26:27], 2
	v_mov_b32_e32 v9, v3
	v_mov_b32_e32 v11, v0
	s_add_u32 s55, s81, s50
	s_addc_u32 s85, s82, s51
	s_mov_b32 s86, 0
	s_branch .LBB4_26
.LBB4_25:                               ;   in Loop: Header=BB4_26 Depth=2
	v_add_nc_u32_e32 v11, s4, v11
	v_add_co_u32 v9, s2, v9, s36
	v_add_co_ci_u32_e64 v10, null, s37, v10, s2
	v_cmp_le_i32_e32 vcc_lo, s3, v11
	s_waitcnt vmcnt(0)
	global_store_dword v[12:13], v35, off
	s_or_b32 s86, vcc_lo, s86
	s_andn2_b32 exec_lo, exec_lo, s86
	s_cbranch_execz .LBB4_28
.LBB4_26:                               ;   Parent Loop BB4_4 Depth=1
                                        ; =>  This Loop Header: Depth=2
                                        ;       Child Loop BB4_27 Depth 3
	v_ashrrev_i32_e32 v12, 31, v11
	v_mov_b32_e32 v15, v10
	v_mov_b32_e32 v14, v9
	s_mov_b64 s[50:51], s[40:41]
	s_mov_b64 s[52:53], s[16:17]
	v_lshlrev_b64 v[12:13], 2, v[11:12]
	s_mov_b32 s2, s69
	v_add_co_u32 v12, vcc_lo, s55, v12
	v_add_co_ci_u32_e64 v13, null, s85, v13, vcc_lo
	s_andn2_b32 vcc_lo, exec_lo, s70
	global_load_dword v35, v[12:13], off
	s_cbranch_vccnz .LBB4_25
	.p2align	6
.LBB4_27:                               ;   Parent Loop BB4_4 Depth=1
                                        ;     Parent Loop BB4_26 Depth=2
                                        ; =>    This Inner Loop Header: Depth=3
	global_load_dword v36, v[14:15], off
	s_clause 0x1
	global_load_dword v37, v34, s[52:53]
	global_load_dword v38, v34, s[50:51]
	s_add_i32 s2, s2, -1
	s_add_u32 s52, s52, 4
	s_addc_u32 s53, s53, 0
	s_add_u32 s50, s50, 4
	s_addc_u32 s51, s51, 0
	s_cmp_eq_u32 s2, 0
	s_waitcnt vmcnt(1)
	v_mul_f32_e32 v39, v37, v36
	s_waitcnt vmcnt(0)
	v_mul_f32_e32 v36, v38, v36
	v_fmac_f32_e32 v39, v35, v38
	v_fma_f32 v35, v35, v37, -v36
	global_store_dword v[14:15], v39, off
	v_add_co_u32 v14, vcc_lo, v14, s34
	v_add_co_ci_u32_e64 v15, null, s35, v15, vcc_lo
	s_cbranch_scc0 .LBB4_27
	s_branch .LBB4_25
.LBB4_28:                               ;   in Loop: Header=BB4_4 Depth=1
	s_or_b32 exec_lo, exec_lo, s54
.LBB4_29:                               ;   in Loop: Header=BB4_4 Depth=1
	s_mov_b32 s2, 0
.LBB4_30:                               ;   in Loop: Header=BB4_4 Depth=1
	s_andn2_b32 vcc_lo, exec_lo, s2
	s_cbranch_vccnz .LBB4_37
; %bb.31:                               ;   in Loop: Header=BB4_4 Depth=1
	s_and_saveexec_b32 s54, s0
	s_cbranch_execz .LBB4_36
; %bb.32:                               ;   in Loop: Header=BB4_4 Depth=1
	v_mov_b32_e32 v10, v6
	v_mov_b32_e32 v9, v5
	;; [unrolled: 1-line block ×3, first 2 shown]
	s_mov_b32 s55, 0
	s_branch .LBB4_34
.LBB4_33:                               ;   in Loop: Header=BB4_34 Depth=2
	v_add_nc_u32_e32 v11, s4, v11
	v_add_co_u32 v9, s2, v9, s36
	v_add_co_ci_u32_e64 v10, null, s37, v10, s2
	v_cmp_le_i32_e32 vcc_lo, s3, v11
	s_waitcnt vmcnt(0)
	global_store_dword v[12:13], v35, off
	s_or_b32 s55, vcc_lo, s55
	s_andn2_b32 exec_lo, exec_lo, s55
	s_cbranch_execz .LBB4_36
.LBB4_34:                               ;   Parent Loop BB4_4 Depth=1
                                        ; =>  This Loop Header: Depth=2
                                        ;       Child Loop BB4_35 Depth 3
	v_ashrrev_i32_e32 v12, 31, v11
	v_mov_b32_e32 v15, v10
	v_mov_b32_e32 v14, v9
	s_mov_b64 s[50:51], s[48:49]
	s_mov_b64 s[52:53], s[46:47]
	v_lshlrev_b64 v[12:13], 2, v[11:12]
	s_mov_b32 s2, s76
	v_add_co_u32 v12, vcc_lo, s81, v12
	v_add_co_ci_u32_e64 v13, null, s82, v13, vcc_lo
	s_andn2_b32 vcc_lo, exec_lo, s70
	global_load_dword v35, v[12:13], off
	s_cbranch_vccnz .LBB4_33
	.p2align	6
.LBB4_35:                               ;   Parent Loop BB4_4 Depth=1
                                        ;     Parent Loop BB4_34 Depth=2
                                        ; =>    This Inner Loop Header: Depth=3
	s_clause 0x1
	global_load_dword v36, v34, s[50:51]
	global_load_dword v37, v34, s[52:53]
	global_load_dword v38, v[14:15], off
	s_waitcnt vmcnt(3)
	v_mov_b32_e32 v39, v35
	s_add_i32 s2, s2, -1
	s_add_u32 s52, s52, -4
	s_addc_u32 s53, s53, -1
	s_add_u32 s50, s50, -4
	s_addc_u32 s51, s51, -1
	s_cmp_lt_u32 s2, 3
	s_waitcnt vmcnt(2)
	v_mul_f32_e32 v40, v39, v36
	s_waitcnt vmcnt(0)
	v_mul_f32_e32 v35, v36, v38
	v_fma_f32 v36, v37, v38, -v40
	v_fmac_f32_e32 v35, v39, v37
	global_store_dword v[14:15], v36, off
	v_add_co_u32 v14, vcc_lo, v14, s5
	v_add_co_ci_u32_e64 v15, null, s21, v15, vcc_lo
	s_cbranch_scc0 .LBB4_35
	s_branch .LBB4_33
.LBB4_36:                               ;   in Loop: Header=BB4_4 Depth=1
	s_or_b32 exec_lo, exec_lo, s54
.LBB4_37:                               ;   in Loop: Header=BB4_4 Depth=1
	s_mov_b32 s2, 0
.LBB4_38:                               ;   in Loop: Header=BB4_4 Depth=1
	s_andn2_b32 vcc_lo, exec_lo, s2
	s_cbranch_vccnz .LBB4_45
; %bb.39:                               ;   in Loop: Header=BB4_4 Depth=1
	s_and_saveexec_b32 s54, s0
	s_cbranch_execz .LBB4_44
; %bb.40:                               ;   in Loop: Header=BB4_4 Depth=1
	v_add_co_u32 v9, vcc_lo, v22, s84
	v_add_co_ci_u32_e64 v10, null, s83, v23, vcc_lo
	v_mov_b32_e32 v11, v0
	s_mov_b32 s55, 0
	s_branch .LBB4_42
.LBB4_41:                               ;   in Loop: Header=BB4_42 Depth=2
	v_add_nc_u32_e32 v11, s4, v11
	v_add_co_u32 v9, s2, v9, s36
	v_add_co_ci_u32_e64 v10, null, s37, v10, s2
	v_cmp_le_i32_e32 vcc_lo, s3, v11
	s_waitcnt vmcnt(0)
	global_store_dword v[12:13], v35, off
	s_or_b32 s55, vcc_lo, s55
	s_andn2_b32 exec_lo, exec_lo, s55
	s_cbranch_execz .LBB4_44
.LBB4_42:                               ;   Parent Loop BB4_4 Depth=1
                                        ; =>  This Loop Header: Depth=2
                                        ;       Child Loop BB4_43 Depth 3
	v_ashrrev_i32_e32 v12, 31, v11
	v_mov_b32_e32 v15, v10
	v_mov_b32_e32 v14, v9
	s_mov_b32 s2, s69
	s_mov_b64 s[50:51], s[16:17]
	v_lshlrev_b64 v[12:13], 2, v[11:12]
	s_mov_b64 s[52:53], s[40:41]
	v_add_co_u32 v12, vcc_lo, s81, v12
	v_add_co_ci_u32_e64 v13, null, s82, v13, vcc_lo
	s_andn2_b32 vcc_lo, exec_lo, s70
	global_load_dword v35, v[12:13], off
	s_cbranch_vccnz .LBB4_41
	.p2align	6
.LBB4_43:                               ;   Parent Loop BB4_4 Depth=1
                                        ;     Parent Loop BB4_42 Depth=2
                                        ; =>    This Inner Loop Header: Depth=3
	s_clause 0x1
	global_load_dword v36, v34, s[52:53]
	global_load_dword v37, v34, s[50:51]
	global_load_dword v38, v[14:15], off
	s_waitcnt vmcnt(3)
	v_mov_b32_e32 v39, v35
	s_add_u32 s52, s52, 4
	s_addc_u32 s53, s53, 0
	s_add_u32 s50, s50, 4
	s_addc_u32 s51, s51, 0
	s_add_i32 s2, s2, -1
	s_cmp_eq_u32 s2, 0
	s_waitcnt vmcnt(2)
	v_mul_f32_e32 v40, v39, v36
	s_waitcnt vmcnt(0)
	v_mul_f32_e32 v35, v36, v38
	v_fma_f32 v36, v37, v38, -v40
	v_fmac_f32_e32 v35, v39, v37
	global_store_dword v[14:15], v36, off
	v_add_co_u32 v14, vcc_lo, v14, s34
	v_add_co_ci_u32_e64 v15, null, s35, v15, vcc_lo
	s_cbranch_scc0 .LBB4_43
	s_branch .LBB4_41
.LBB4_44:                               ;   in Loop: Header=BB4_4 Depth=1
	s_or_b32 exec_lo, exec_lo, s54
.LBB4_45:                               ;   in Loop: Header=BB4_4 Depth=1
	s_mov_b32 s2, 0
.LBB4_46:                               ;   in Loop: Header=BB4_4 Depth=1
	s_andn2_b32 vcc_lo, exec_lo, s2
	s_cbranch_vccnz .LBB4_54
; %bb.47:                               ;   in Loop: Header=BB4_4 Depth=1
	s_and_saveexec_b32 s85, s0
	s_cbranch_execz .LBB4_53
; %bb.48:                               ;   in Loop: Header=BB4_4 Depth=1
	s_lshl_b64 s[50:51], s[26:27], 2
	v_mov_b32_e32 v9, v0
	s_add_u32 s86, s81, s50
	s_addc_u32 s87, s82, s51
	s_mov_b32 s88, 0
	s_branch .LBB4_50
.LBB4_49:                               ;   in Loop: Header=BB4_50 Depth=2
	v_add_nc_u32_e32 v9, s4, v9
	v_add_co_u32 v10, vcc_lo, s81, v10
	v_add_co_ci_u32_e64 v11, null, s82, v11, vcc_lo
	v_add_co_u32 v5, vcc_lo, v5, s36
	v_add_co_ci_u32_e64 v6, null, s37, v6, vcc_lo
	v_cmp_le_i32_e32 vcc_lo, s3, v9
	v_add_co_u32 v7, s2, v7, s36
	v_add_co_ci_u32_e64 v8, null, s37, v8, s2
	s_or_b32 s88, vcc_lo, s88
	s_waitcnt vmcnt(0)
	global_store_dword v[10:11], v12, off
	s_andn2_b32 exec_lo, exec_lo, s88
	s_cbranch_execz .LBB4_53
.LBB4_50:                               ;   Parent Loop BB4_4 Depth=1
                                        ; =>  This Loop Header: Depth=2
                                        ;       Child Loop BB4_52 Depth 3
	v_ashrrev_i32_e32 v10, 31, v9
	v_lshlrev_b64 v[10:11], 2, v[9:10]
	v_add_co_u32 v12, vcc_lo, s86, v10
	v_add_co_ci_u32_e64 v13, null, s87, v11, vcc_lo
	s_andn2_b32 vcc_lo, exec_lo, s70
	global_load_dword v12, v[12:13], off
	s_cbranch_vccnz .LBB4_49
; %bb.51:                               ;   in Loop: Header=BB4_50 Depth=2
	s_mov_b64 s[50:51], 0
	s_mov_b64 s[52:53], s[48:49]
	;; [unrolled: 1-line block ×3, first 2 shown]
	s_mov_b32 s2, s69
	.p2align	6
.LBB4_52:                               ;   Parent Loop BB4_4 Depth=1
                                        ;     Parent Loop BB4_50 Depth=2
                                        ; =>    This Inner Loop Header: Depth=3
	v_add_co_u32 v13, vcc_lo, v7, s50
	v_add_co_ci_u32_e64 v14, null, s51, v8, vcc_lo
	s_waitcnt vmcnt(0)
	v_mov_b32_e32 v37, v12
	s_clause 0x1
	global_load_dword v15, v34, s[54:55]
	global_load_dword v35, v34, s[52:53]
	global_load_dword v36, v[13:14], off
	v_add_co_u32 v13, vcc_lo, v5, s50
	s_add_i32 s2, s2, -1
	s_sub_u32 s50, s50, s34
	v_add_co_ci_u32_e64 v14, null, s51, v6, vcc_lo
	s_subb_u32 s51, s51, s35
	s_add_u32 s54, s54, -4
	s_addc_u32 s55, s55, -1
	s_add_u32 s52, s52, -4
	s_addc_u32 s53, s53, -1
	s_cmp_eq_u32 s2, 0
	s_waitcnt vmcnt(0)
	v_mul_f32_e32 v38, v35, v36
	v_mul_f32_e32 v12, v15, v36
	v_fma_f32 v15, v37, v15, -v38
	v_fmac_f32_e32 v12, v37, v35
	global_store_dword v[13:14], v15, off
	s_cbranch_scc0 .LBB4_52
	s_branch .LBB4_49
.LBB4_53:                               ;   in Loop: Header=BB4_4 Depth=1
	s_or_b32 exec_lo, exec_lo, s85
.LBB4_54:                               ;   in Loop: Header=BB4_4 Depth=1
	s_mov_b32 s46, 0
.LBB4_55:                               ;   in Loop: Header=BB4_4 Depth=1
	s_andn2_b32 vcc_lo, exec_lo, s46
	s_cbranch_vccnz .LBB4_62
; %bb.56:                               ;   in Loop: Header=BB4_4 Depth=1
	s_and_saveexec_b32 s50, s0
	s_cbranch_execz .LBB4_61
; %bb.57:                               ;   in Loop: Header=BB4_4 Depth=1
	s_lshl_b64 s[46:47], s[26:27], 2
	v_mov_b32_e32 v5, v0
	s_add_u32 s51, s81, s46
	s_addc_u32 s52, s82, s47
	s_mov_b32 s53, 0
	s_branch .LBB4_59
.LBB4_58:                               ;   in Loop: Header=BB4_59 Depth=2
	v_add_nc_u32_e32 v5, s4, v5
	v_add_co_u32 v6, vcc_lo, s51, v6
	v_add_co_ci_u32_e64 v7, null, s52, v7, vcc_lo
	v_cmp_le_i32_e32 vcc_lo, s3, v5
	v_add_co_u32 v3, s2, v3, s36
	v_add_co_ci_u32_e64 v4, null, s37, v4, s2
	s_or_b32 s53, vcc_lo, s53
	s_waitcnt vmcnt(0)
	global_store_dword v[6:7], v10, off
	s_andn2_b32 exec_lo, exec_lo, s53
	s_cbranch_execz .LBB4_61
.LBB4_59:                               ;   Parent Loop BB4_4 Depth=1
                                        ; =>  This Loop Header: Depth=2
                                        ;       Child Loop BB4_60 Depth 3
	v_ashrrev_i32_e32 v6, 31, v5
	s_mov_b64 s[46:47], s[40:41]
	s_mov_b64 s[48:49], s[16:17]
	s_mov_b32 s2, s69
	v_lshlrev_b64 v[6:7], 2, v[5:6]
	v_add_co_u32 v8, vcc_lo, s81, v6
	v_add_co_ci_u32_e64 v9, null, s82, v7, vcc_lo
	s_andn2_b32 vcc_lo, exec_lo, s70
	global_load_dword v10, v[8:9], off
	v_mov_b32_e32 v9, v4
	v_mov_b32_e32 v8, v3
	s_cbranch_vccnz .LBB4_58
	.p2align	6
.LBB4_60:                               ;   Parent Loop BB4_4 Depth=1
                                        ;     Parent Loop BB4_59 Depth=2
                                        ; =>    This Inner Loop Header: Depth=3
	v_add_co_u32 v11, vcc_lo, v8, s34
	v_add_co_ci_u32_e64 v12, null, s35, v9, vcc_lo
	s_add_i32 s2, s2, -1
	global_load_dword v13, v[11:12], off
	s_clause 0x1
	global_load_dword v14, v34, s[46:47]
	global_load_dword v15, v34, s[48:49]
	s_add_u32 s48, s48, 4
	s_addc_u32 s49, s49, 0
	s_add_u32 s46, s46, 4
	s_addc_u32 s47, s47, 0
	s_cmp_eq_u32 s2, 0
	s_waitcnt vmcnt(1)
	v_mul_f32_e32 v35, v14, v13
	v_mul_f32_e32 v14, v10, v14
	s_waitcnt vmcnt(0)
	v_fmac_f32_e32 v35, v10, v15
	v_fma_f32 v10, v15, v13, -v14
	global_store_dword v[8:9], v35, off
	v_mov_b32_e32 v8, v11
	v_mov_b32_e32 v9, v12
	s_cbranch_scc0 .LBB4_60
	s_branch .LBB4_58
.LBB4_61:                               ;   in Loop: Header=BB4_4 Depth=1
	s_or_b32 exec_lo, exec_lo, s50
.LBB4_62:                               ;   in Loop: Header=BB4_4 Depth=1
	s_mov_b32 s46, 0
.LBB4_63:                               ;   in Loop: Header=BB4_4 Depth=1
	s_andn2_b32 vcc_lo, exec_lo, s46
	s_cbranch_vccnz .LBB4_70
; %bb.64:                               ;   in Loop: Header=BB4_4 Depth=1
	s_and_saveexec_b32 s50, s1
	s_cbranch_execz .LBB4_69
; %bb.65:                               ;   in Loop: Header=BB4_4 Depth=1
	v_add_co_u32 v3, vcc_lo, v24, s84
	v_add_co_ci_u32_e64 v4, null, s83, v25, vcc_lo
	s_lshl_b64 s[46:47], s[28:29], 2
	v_mov_b32_e32 v9, v0
	s_add_u32 s51, s81, s46
	s_addc_u32 s52, s82, s47
	s_mov_b32 s53, 0
	s_branch .LBB4_67
.LBB4_66:                               ;   in Loop: Header=BB4_67 Depth=2
	v_add_nc_u32_e32 v9, s4, v9
	v_add_co_u32 v3, s2, v3, s38
	v_add_co_ci_u32_e64 v4, null, s39, v4, s2
	v_cmp_le_i32_e32 vcc_lo, s56, v9
	s_waitcnt vmcnt(0)
	global_store_dword v[5:6], v10, off offset:-4
	s_or_b32 s53, vcc_lo, s53
	s_andn2_b32 exec_lo, exec_lo, s53
	s_cbranch_execz .LBB4_69
.LBB4_67:                               ;   Parent Loop BB4_4 Depth=1
                                        ; =>  This Loop Header: Depth=2
                                        ;       Child Loop BB4_68 Depth 3
	v_mad_i64_i32 v[5:6], null, v9, s20, 0
	v_mov_b32_e32 v8, v4
	v_mov_b32_e32 v7, v3
	s_mov_b64 s[46:47], s[44:45]
	s_mov_b64 s[48:49], s[42:43]
	s_mov_b32 s2, s24
	v_lshlrev_b64 v[5:6], 2, v[5:6]
	v_add_co_u32 v5, vcc_lo, s51, v5
	v_add_co_ci_u32_e64 v6, null, s52, v6, vcc_lo
	s_andn2_b32 vcc_lo, exec_lo, s71
	global_load_dword v10, v[5:6], off offset:-4
	s_cbranch_vccnz .LBB4_66
	.p2align	6
.LBB4_68:                               ;   Parent Loop BB4_4 Depth=1
                                        ;     Parent Loop BB4_67 Depth=2
                                        ; =>    This Inner Loop Header: Depth=3
	global_load_dword v11, v[7:8], off
	s_clause 0x1
	global_load_dword v12, v34, s[48:49]
	global_load_dword v13, v34, s[46:47]
	s_add_i32 s2, s2, -1
	s_add_u32 s48, s48, -4
	s_addc_u32 s49, s49, -1
	s_add_u32 s46, s46, -4
	s_addc_u32 s47, s47, -1
	s_cmp_eq_u32 s2, 0
	s_waitcnt vmcnt(1)
	v_mul_f32_e32 v14, v12, v11
	s_waitcnt vmcnt(0)
	v_mul_f32_e32 v11, v13, v11
	v_fmac_f32_e32 v14, v10, v13
	v_fma_f32 v10, v10, v12, -v11
	global_store_dword v[7:8], v14, off
	v_add_co_u32 v7, vcc_lo, v7, -4
	v_add_co_ci_u32_e64 v8, null, -1, v8, vcc_lo
	s_cbranch_scc0 .LBB4_68
	s_branch .LBB4_66
.LBB4_69:                               ;   in Loop: Header=BB4_4 Depth=1
	s_or_b32 exec_lo, exec_lo, s50
.LBB4_70:                               ;   in Loop: Header=BB4_4 Depth=1
	s_mov_b32 s46, 0
.LBB4_71:                               ;   in Loop: Header=BB4_4 Depth=1
	s_andn2_b32 vcc_lo, exec_lo, s46
	s_cbranch_vccnz .LBB4_78
; %bb.72:                               ;   in Loop: Header=BB4_4 Depth=1
	s_and_saveexec_b32 s50, s1
	s_cbranch_execz .LBB4_77
; %bb.73:                               ;   in Loop: Header=BB4_4 Depth=1
	v_add_co_u32 v3, vcc_lo, v26, s84
	v_add_co_ci_u32_e64 v4, null, s83, v27, vcc_lo
	s_lshl_b64 s[46:47], s[28:29], 2
	v_mov_b32_e32 v9, v0
	s_add_u32 s51, s81, s46
	s_addc_u32 s52, s82, s47
	s_mov_b32 s53, 0
	s_branch .LBB4_75
.LBB4_74:                               ;   in Loop: Header=BB4_75 Depth=2
	v_add_nc_u32_e32 v9, s4, v9
	v_add_co_u32 v3, s2, v3, s38
	v_add_co_ci_u32_e64 v4, null, s39, v4, s2
	v_cmp_le_i32_e32 vcc_lo, s56, v9
	s_waitcnt vmcnt(0)
	global_store_dword v[5:6], v10, off offset:-4
	s_or_b32 s53, vcc_lo, s53
	s_andn2_b32 exec_lo, exec_lo, s53
	s_cbranch_execz .LBB4_77
.LBB4_75:                               ;   Parent Loop BB4_4 Depth=1
                                        ; =>  This Loop Header: Depth=2
                                        ;       Child Loop BB4_76 Depth 3
	v_mad_i64_i32 v[5:6], null, v9, s20, 0
	v_mov_b32_e32 v8, v4
	v_mov_b32_e32 v7, v3
	s_mov_b64 s[46:47], s[40:41]
	s_mov_b64 s[48:49], s[16:17]
	s_mov_b32 s2, s24
	v_lshlrev_b64 v[5:6], 2, v[5:6]
	v_add_co_u32 v5, vcc_lo, s51, v5
	v_add_co_ci_u32_e64 v6, null, s52, v6, vcc_lo
	s_andn2_b32 vcc_lo, exec_lo, s71
	global_load_dword v10, v[5:6], off offset:-4
	s_cbranch_vccnz .LBB4_74
	.p2align	6
.LBB4_76:                               ;   Parent Loop BB4_4 Depth=1
                                        ;     Parent Loop BB4_75 Depth=2
                                        ; =>    This Inner Loop Header: Depth=3
	global_load_dword v11, v[7:8], off
	s_clause 0x1
	global_load_dword v12, v34, s[48:49]
	global_load_dword v13, v34, s[46:47]
	s_add_i32 s2, s2, -1
	s_add_u32 s48, s48, 4
	s_addc_u32 s49, s49, 0
	s_add_u32 s46, s46, 4
	s_addc_u32 s47, s47, 0
	s_cmp_eq_u32 s2, 0
	s_waitcnt vmcnt(1)
	v_mul_f32_e32 v14, v12, v11
	s_waitcnt vmcnt(0)
	v_mul_f32_e32 v11, v13, v11
	v_fmac_f32_e32 v14, v10, v13
	v_fma_f32 v10, v10, v12, -v11
	global_store_dword v[7:8], v14, off
	v_add_co_u32 v7, vcc_lo, v7, 4
	v_add_co_ci_u32_e64 v8, null, 0, v8, vcc_lo
	s_cbranch_scc0 .LBB4_76
	s_branch .LBB4_74
.LBB4_77:                               ;   in Loop: Header=BB4_4 Depth=1
	s_or_b32 exec_lo, exec_lo, s50
.LBB4_78:                               ;   in Loop: Header=BB4_4 Depth=1
	s_mov_b32 s46, 0
.LBB4_79:                               ;   in Loop: Header=BB4_4 Depth=1
	s_andn2_b32 vcc_lo, exec_lo, s46
	s_cbranch_vccnz .LBB4_86
; %bb.80:                               ;   in Loop: Header=BB4_4 Depth=1
	s_and_saveexec_b32 s50, s1
	s_cbranch_execz .LBB4_85
; %bb.81:                               ;   in Loop: Header=BB4_4 Depth=1
	v_add_co_u32 v3, vcc_lo, v28, s84
	v_add_co_ci_u32_e64 v4, null, s83, v29, vcc_lo
	v_mov_b32_e32 v9, v0
	s_mov_b32 s51, 0
	s_branch .LBB4_83
.LBB4_82:                               ;   in Loop: Header=BB4_83 Depth=2
	v_add_nc_u32_e32 v9, s4, v9
	v_add_co_u32 v3, s2, v3, s38
	v_add_co_ci_u32_e64 v4, null, s39, v4, s2
	v_cmp_le_i32_e32 vcc_lo, s56, v9
	s_waitcnt vmcnt(0)
	global_store_dword v[5:6], v10, off
	s_or_b32 s51, vcc_lo, s51
	s_andn2_b32 exec_lo, exec_lo, s51
	s_cbranch_execz .LBB4_85
.LBB4_83:                               ;   Parent Loop BB4_4 Depth=1
                                        ; =>  This Loop Header: Depth=2
                                        ;       Child Loop BB4_84 Depth 3
	v_mad_i64_i32 v[5:6], null, v9, s20, 0
	v_mov_b32_e32 v8, v4
	v_mov_b32_e32 v7, v3
	s_mov_b64 s[46:47], s[44:45]
	s_mov_b64 s[48:49], s[42:43]
	s_mov_b32 s2, s25
	v_lshlrev_b64 v[5:6], 2, v[5:6]
	v_add_co_u32 v5, vcc_lo, s81, v5
	v_add_co_ci_u32_e64 v6, null, s82, v6, vcc_lo
	s_andn2_b32 vcc_lo, exec_lo, s71
	global_load_dword v10, v[5:6], off
	s_cbranch_vccnz .LBB4_82
	.p2align	6
.LBB4_84:                               ;   Parent Loop BB4_4 Depth=1
                                        ;     Parent Loop BB4_83 Depth=2
                                        ; =>    This Inner Loop Header: Depth=3
	s_clause 0x1
	global_load_dword v11, v34, s[46:47]
	global_load_dword v12, v34, s[48:49]
	global_load_dword v13, v[7:8], off
	s_waitcnt vmcnt(3)
	v_mov_b32_e32 v14, v10
	s_add_i32 s2, s2, -1
	s_add_u32 s48, s48, -4
	s_addc_u32 s49, s49, -1
	s_add_u32 s46, s46, -4
	s_addc_u32 s47, s47, -1
	s_cmp_lt_u32 s2, 3
	s_waitcnt vmcnt(2)
	v_mul_f32_e32 v15, v14, v11
	s_waitcnt vmcnt(0)
	v_mul_f32_e32 v10, v11, v13
	v_fma_f32 v11, v12, v13, -v15
	v_fmac_f32_e32 v10, v14, v12
	global_store_dword v[7:8], v11, off
	v_add_co_u32 v7, vcc_lo, v7, -4
	v_add_co_ci_u32_e64 v8, null, -1, v8, vcc_lo
	s_cbranch_scc0 .LBB4_84
	s_branch .LBB4_82
.LBB4_85:                               ;   in Loop: Header=BB4_4 Depth=1
	s_or_b32 exec_lo, exec_lo, s50
.LBB4_86:                               ;   in Loop: Header=BB4_4 Depth=1
	s_mov_b32 s46, 0
.LBB4_87:                               ;   in Loop: Header=BB4_4 Depth=1
	s_andn2_b32 vcc_lo, exec_lo, s46
	s_cbranch_vccnz .LBB4_94
; %bb.88:                               ;   in Loop: Header=BB4_4 Depth=1
	s_and_saveexec_b32 s50, s1
	s_cbranch_execz .LBB4_93
; %bb.89:                               ;   in Loop: Header=BB4_4 Depth=1
	v_mov_b32_e32 v4, v2
	v_mov_b32_e32 v3, v1
	;; [unrolled: 1-line block ×3, first 2 shown]
	s_mov_b32 s51, 0
	s_branch .LBB4_91
.LBB4_90:                               ;   in Loop: Header=BB4_91 Depth=2
	v_add_nc_u32_e32 v9, s4, v9
	v_add_co_u32 v3, s2, v3, s38
	v_add_co_ci_u32_e64 v4, null, s39, v4, s2
	v_cmp_le_i32_e32 vcc_lo, s56, v9
	s_waitcnt vmcnt(0)
	global_store_dword v[5:6], v10, off
	s_or_b32 s51, vcc_lo, s51
	s_andn2_b32 exec_lo, exec_lo, s51
	s_cbranch_execz .LBB4_93
.LBB4_91:                               ;   Parent Loop BB4_4 Depth=1
                                        ; =>  This Loop Header: Depth=2
                                        ;       Child Loop BB4_92 Depth 3
	v_mad_i64_i32 v[5:6], null, v9, s20, 0
	v_mov_b32_e32 v8, v4
	v_mov_b32_e32 v7, v3
	s_mov_b32 s2, s24
	s_mov_b64 s[46:47], s[16:17]
	s_mov_b64 s[48:49], s[40:41]
	v_lshlrev_b64 v[5:6], 2, v[5:6]
	v_add_co_u32 v5, vcc_lo, s81, v5
	v_add_co_ci_u32_e64 v6, null, s82, v6, vcc_lo
	s_andn2_b32 vcc_lo, exec_lo, s71
	global_load_dword v10, v[5:6], off
	s_cbranch_vccnz .LBB4_90
	.p2align	6
.LBB4_92:                               ;   Parent Loop BB4_4 Depth=1
                                        ;     Parent Loop BB4_91 Depth=2
                                        ; =>    This Inner Loop Header: Depth=3
	s_clause 0x1
	global_load_dword v11, v34, s[48:49]
	global_load_dword v12, v34, s[46:47]
	global_load_dword v13, v[7:8], off
	s_waitcnt vmcnt(3)
	v_mov_b32_e32 v14, v10
	s_add_u32 s48, s48, 4
	s_addc_u32 s49, s49, 0
	s_add_u32 s46, s46, 4
	s_addc_u32 s47, s47, 0
	s_add_i32 s2, s2, -1
	s_cmp_eq_u32 s2, 0
	s_waitcnt vmcnt(2)
	v_mul_f32_e32 v15, v14, v11
	s_waitcnt vmcnt(0)
	v_mul_f32_e32 v10, v11, v13
	v_fma_f32 v11, v12, v13, -v15
	v_fmac_f32_e32 v10, v14, v12
	global_store_dword v[7:8], v11, off
	v_add_co_u32 v7, vcc_lo, v7, 4
	v_add_co_ci_u32_e64 v8, null, 0, v8, vcc_lo
	s_cbranch_scc0 .LBB4_92
	s_branch .LBB4_90
.LBB4_93:                               ;   in Loop: Header=BB4_4 Depth=1
	s_or_b32 exec_lo, exec_lo, s50
.LBB4_94:                               ;   in Loop: Header=BB4_4 Depth=1
	s_mov_b32 s46, 0
.LBB4_95:                               ;   in Loop: Header=BB4_4 Depth=1
	s_andn2_b32 vcc_lo, exec_lo, s46
	s_cbranch_vccnz .LBB4_102
; %bb.96:                               ;   in Loop: Header=BB4_4 Depth=1
	s_and_saveexec_b32 s50, s1
	s_cbranch_execz .LBB4_101
; %bb.97:                               ;   in Loop: Header=BB4_4 Depth=1
	v_add_co_u32 v3, vcc_lo, v32, s84
	v_add_co_ci_u32_e64 v4, null, s83, v33, vcc_lo
	s_lshl_b64 s[46:47], s[28:29], 2
	v_mov_b32_e32 v9, v0
	s_add_u32 s51, s81, s46
	s_addc_u32 s52, s82, s47
	s_mov_b32 s53, 0
	s_branch .LBB4_99
.LBB4_98:                               ;   in Loop: Header=BB4_99 Depth=2
	v_add_nc_u32_e32 v9, s4, v9
	v_add_co_u32 v5, vcc_lo, s81, v5
	v_add_co_ci_u32_e64 v6, null, s82, v6, vcc_lo
	v_cmp_le_i32_e32 vcc_lo, s56, v9
	v_add_co_u32 v3, s2, v3, s38
	v_add_co_ci_u32_e64 v4, null, s39, v4, s2
	s_or_b32 s53, vcc_lo, s53
	s_waitcnt vmcnt(0)
	global_store_dword v[5:6], v10, off
	s_andn2_b32 exec_lo, exec_lo, s53
	s_cbranch_execz .LBB4_101
.LBB4_99:                               ;   Parent Loop BB4_4 Depth=1
                                        ; =>  This Loop Header: Depth=2
                                        ;       Child Loop BB4_100 Depth 3
	v_mad_i64_i32 v[5:6], null, v9, s20, 0
	s_mov_b64 s[46:47], s[44:45]
	s_mov_b64 s[48:49], s[42:43]
	s_mov_b32 s2, s24
	v_lshlrev_b64 v[5:6], 2, v[5:6]
	v_add_co_u32 v7, vcc_lo, s51, v5
	v_add_co_ci_u32_e64 v8, null, s52, v6, vcc_lo
	s_andn2_b32 vcc_lo, exec_lo, s71
	global_load_dword v10, v[7:8], off offset:-4
	v_mov_b32_e32 v8, v4
	v_mov_b32_e32 v7, v3
	s_cbranch_vccnz .LBB4_98
	.p2align	6
.LBB4_100:                              ;   Parent Loop BB4_4 Depth=1
                                        ;     Parent Loop BB4_99 Depth=2
                                        ; =>    This Inner Loop Header: Depth=3
	global_load_dword v13, v[7:8], off offset:-4
	s_clause 0x1
	global_load_dword v14, v34, s[46:47]
	global_load_dword v15, v34, s[48:49]
	s_waitcnt vmcnt(3)
	v_mov_b32_e32 v35, v10
	v_add_co_u32 v11, vcc_lo, v7, -4
	v_add_co_ci_u32_e64 v12, null, -1, v8, vcc_lo
	s_add_i32 s2, s2, -1
	s_add_u32 s48, s48, -4
	s_addc_u32 s49, s49, -1
	s_add_u32 s46, s46, -4
	s_addc_u32 s47, s47, -1
	s_cmp_eq_u32 s2, 0
	s_waitcnt vmcnt(1)
	v_mul_f32_e32 v36, v14, v13
	s_waitcnt vmcnt(0)
	v_mul_f32_e32 v10, v15, v13
	v_fma_f32 v13, v35, v15, -v36
	v_fmac_f32_e32 v10, v35, v14
	global_store_dword v[7:8], v13, off
	v_mov_b32_e32 v7, v11
	v_mov_b32_e32 v8, v12
	s_cbranch_scc0 .LBB4_100
	s_branch .LBB4_98
.LBB4_101:                              ;   in Loop: Header=BB4_4 Depth=1
	s_or_b32 exec_lo, exec_lo, s50
.LBB4_102:                              ;   in Loop: Header=BB4_4 Depth=1
	s_cbranch_execnz .LBB4_3
.LBB4_103:                              ;   in Loop: Header=BB4_4 Depth=1
	s_and_saveexec_b32 s46, s1
	s_cbranch_execz .LBB4_2
; %bb.104:                              ;   in Loop: Header=BB4_4 Depth=1
	s_lshl_b64 s[42:43], s[28:29], 2
	v_mov_b32_e32 v7, v0
	s_add_u32 s47, s81, s42
	s_addc_u32 s48, s82, s43
	s_mov_b32 s49, 0
	s_branch .LBB4_106
.LBB4_105:                              ;   in Loop: Header=BB4_106 Depth=2
	v_add_nc_u32_e32 v7, s4, v7
	v_add_co_u32 v3, vcc_lo, s47, v3
	v_add_co_ci_u32_e64 v4, null, s48, v4, vcc_lo
	v_cmp_le_i32_e32 vcc_lo, s56, v7
	v_add_co_u32 v1, s2, v1, s38
	v_add_co_ci_u32_e64 v2, null, s39, v2, s2
	s_or_b32 s49, vcc_lo, s49
	s_waitcnt vmcnt(0)
	global_store_dword v[3:4], v8, off offset:-4
	s_andn2_b32 exec_lo, exec_lo, s49
	s_cbranch_execz .LBB4_2
.LBB4_106:                              ;   Parent Loop BB4_4 Depth=1
                                        ; =>  This Loop Header: Depth=2
                                        ;       Child Loop BB4_107 Depth 3
	v_mad_i64_i32 v[3:4], null, v7, s20, 0
	s_mov_b64 s[42:43], s[40:41]
	s_mov_b64 s[44:45], s[16:17]
	s_mov_b32 s2, s24
	v_lshlrev_b64 v[3:4], 2, v[3:4]
	v_add_co_u32 v5, vcc_lo, s81, v3
	v_add_co_ci_u32_e64 v6, null, s82, v4, vcc_lo
	s_andn2_b32 vcc_lo, exec_lo, s71
	global_load_dword v8, v[5:6], off
	v_mov_b32_e32 v6, v2
	v_mov_b32_e32 v5, v1
	s_cbranch_vccnz .LBB4_105
	.p2align	6
.LBB4_107:                              ;   Parent Loop BB4_4 Depth=1
                                        ;     Parent Loop BB4_106 Depth=2
                                        ; =>    This Inner Loop Header: Depth=3
	global_load_dword v9, v[5:6], off
	s_clause 0x1
	global_load_dword v10, v34, s[42:43]
	global_load_dword v11, v34, s[44:45]
	s_add_i32 s2, s2, -1
	s_add_u32 s44, s44, 4
	s_addc_u32 s45, s45, 0
	s_add_u32 s42, s42, 4
	s_addc_u32 s43, s43, 0
	s_cmp_eq_u32 s2, 0
	s_waitcnt vmcnt(1)
	v_mul_f32_e32 v12, v10, v9
	v_mul_f32_e32 v10, v8, v10
	s_waitcnt vmcnt(0)
	v_fmac_f32_e32 v12, v8, v11
	v_fma_f32 v8, v11, v9, -v10
	global_store_dword v[5:6], v12, off offset:-4
	v_add_co_u32 v5, vcc_lo, v5, 4
	v_add_co_ci_u32_e64 v6, null, 0, v6, vcc_lo
	s_cbranch_scc0 .LBB4_107
	s_branch .LBB4_105
.LBB4_108:
	s_endpgm
	.section	.rodata,"a",@progbits
	.p2align	6, 0x0
	.amdhsa_kernel _ZN9rocsolver6v33100L11lasr_kernelIffPfiEEv13rocblas_side_14rocblas_pivot_15rocblas_direct_T2_S6_PT0_lS8_lT1_lS6_lS6_
		.amdhsa_group_segment_fixed_size 0
		.amdhsa_private_segment_fixed_size 0
		.amdhsa_kernarg_size 352
		.amdhsa_user_sgpr_count 6
		.amdhsa_user_sgpr_private_segment_buffer 1
		.amdhsa_user_sgpr_dispatch_ptr 0
		.amdhsa_user_sgpr_queue_ptr 0
		.amdhsa_user_sgpr_kernarg_segment_ptr 1
		.amdhsa_user_sgpr_dispatch_id 0
		.amdhsa_user_sgpr_flat_scratch_init 0
		.amdhsa_user_sgpr_private_segment_size 0
		.amdhsa_wavefront_size32 1
		.amdhsa_uses_dynamic_stack 0
		.amdhsa_system_sgpr_private_segment_wavefront_offset 0
		.amdhsa_system_sgpr_workgroup_id_x 1
		.amdhsa_system_sgpr_workgroup_id_y 0
		.amdhsa_system_sgpr_workgroup_id_z 1
		.amdhsa_system_sgpr_workgroup_info 0
		.amdhsa_system_vgpr_workitem_id 0
		.amdhsa_next_free_vgpr 41
		.amdhsa_next_free_sgpr 89
		.amdhsa_reserve_vcc 1
		.amdhsa_reserve_flat_scratch 0
		.amdhsa_float_round_mode_32 0
		.amdhsa_float_round_mode_16_64 0
		.amdhsa_float_denorm_mode_32 3
		.amdhsa_float_denorm_mode_16_64 3
		.amdhsa_dx10_clamp 1
		.amdhsa_ieee_mode 1
		.amdhsa_fp16_overflow 0
		.amdhsa_workgroup_processor_mode 1
		.amdhsa_memory_ordered 1
		.amdhsa_forward_progress 1
		.amdhsa_shared_vgpr_count 0
		.amdhsa_exception_fp_ieee_invalid_op 0
		.amdhsa_exception_fp_denorm_src 0
		.amdhsa_exception_fp_ieee_div_zero 0
		.amdhsa_exception_fp_ieee_overflow 0
		.amdhsa_exception_fp_ieee_underflow 0
		.amdhsa_exception_fp_ieee_inexact 0
		.amdhsa_exception_int_div_zero 0
	.end_amdhsa_kernel
	.section	.text._ZN9rocsolver6v33100L11lasr_kernelIffPfiEEv13rocblas_side_14rocblas_pivot_15rocblas_direct_T2_S6_PT0_lS8_lT1_lS6_lS6_,"axG",@progbits,_ZN9rocsolver6v33100L11lasr_kernelIffPfiEEv13rocblas_side_14rocblas_pivot_15rocblas_direct_T2_S6_PT0_lS8_lT1_lS6_lS6_,comdat
.Lfunc_end4:
	.size	_ZN9rocsolver6v33100L11lasr_kernelIffPfiEEv13rocblas_side_14rocblas_pivot_15rocblas_direct_T2_S6_PT0_lS8_lT1_lS6_lS6_, .Lfunc_end4-_ZN9rocsolver6v33100L11lasr_kernelIffPfiEEv13rocblas_side_14rocblas_pivot_15rocblas_direct_T2_S6_PT0_lS8_lT1_lS6_lS6_
                                        ; -- End function
	.set _ZN9rocsolver6v33100L11lasr_kernelIffPfiEEv13rocblas_side_14rocblas_pivot_15rocblas_direct_T2_S6_PT0_lS8_lT1_lS6_lS6_.num_vgpr, 41
	.set _ZN9rocsolver6v33100L11lasr_kernelIffPfiEEv13rocblas_side_14rocblas_pivot_15rocblas_direct_T2_S6_PT0_lS8_lT1_lS6_lS6_.num_agpr, 0
	.set _ZN9rocsolver6v33100L11lasr_kernelIffPfiEEv13rocblas_side_14rocblas_pivot_15rocblas_direct_T2_S6_PT0_lS8_lT1_lS6_lS6_.numbered_sgpr, 89
	.set _ZN9rocsolver6v33100L11lasr_kernelIffPfiEEv13rocblas_side_14rocblas_pivot_15rocblas_direct_T2_S6_PT0_lS8_lT1_lS6_lS6_.num_named_barrier, 0
	.set _ZN9rocsolver6v33100L11lasr_kernelIffPfiEEv13rocblas_side_14rocblas_pivot_15rocblas_direct_T2_S6_PT0_lS8_lT1_lS6_lS6_.private_seg_size, 0
	.set _ZN9rocsolver6v33100L11lasr_kernelIffPfiEEv13rocblas_side_14rocblas_pivot_15rocblas_direct_T2_S6_PT0_lS8_lT1_lS6_lS6_.uses_vcc, 1
	.set _ZN9rocsolver6v33100L11lasr_kernelIffPfiEEv13rocblas_side_14rocblas_pivot_15rocblas_direct_T2_S6_PT0_lS8_lT1_lS6_lS6_.uses_flat_scratch, 0
	.set _ZN9rocsolver6v33100L11lasr_kernelIffPfiEEv13rocblas_side_14rocblas_pivot_15rocblas_direct_T2_S6_PT0_lS8_lT1_lS6_lS6_.has_dyn_sized_stack, 0
	.set _ZN9rocsolver6v33100L11lasr_kernelIffPfiEEv13rocblas_side_14rocblas_pivot_15rocblas_direct_T2_S6_PT0_lS8_lT1_lS6_lS6_.has_recursion, 0
	.set _ZN9rocsolver6v33100L11lasr_kernelIffPfiEEv13rocblas_side_14rocblas_pivot_15rocblas_direct_T2_S6_PT0_lS8_lT1_lS6_lS6_.has_indirect_call, 0
	.section	.AMDGPU.csdata,"",@progbits
; Kernel info:
; codeLenInByte = 4916
; TotalNumSgprs: 91
; NumVgprs: 41
; ScratchSize: 0
; MemoryBound: 0
; FloatMode: 240
; IeeeMode: 1
; LDSByteSize: 0 bytes/workgroup (compile time only)
; SGPRBlocks: 0
; VGPRBlocks: 5
; NumSGPRsForWavesPerEU: 91
; NumVGPRsForWavesPerEU: 41
; Occupancy: 16
; WaveLimiterHint : 0
; COMPUTE_PGM_RSRC2:SCRATCH_EN: 0
; COMPUTE_PGM_RSRC2:USER_SGPR: 6
; COMPUTE_PGM_RSRC2:TRAP_HANDLER: 0
; COMPUTE_PGM_RSRC2:TGID_X_EN: 1
; COMPUTE_PGM_RSRC2:TGID_Y_EN: 0
; COMPUTE_PGM_RSRC2:TGID_Z_EN: 1
; COMPUTE_PGM_RSRC2:TIDIG_COMP_CNT: 0
	.section	.text._ZN9rocsolver6v33100L11swap_kernelIfiEEvT0_PT_S2_S4_S2_,"axG",@progbits,_ZN9rocsolver6v33100L11swap_kernelIfiEEvT0_PT_S2_S4_S2_,comdat
	.globl	_ZN9rocsolver6v33100L11swap_kernelIfiEEvT0_PT_S2_S4_S2_ ; -- Begin function _ZN9rocsolver6v33100L11swap_kernelIfiEEvT0_PT_S2_S4_S2_
	.p2align	8
	.type	_ZN9rocsolver6v33100L11swap_kernelIfiEEvT0_PT_S2_S4_S2_,@function
_ZN9rocsolver6v33100L11swap_kernelIfiEEvT0_PT_S2_S4_S2_: ; @_ZN9rocsolver6v33100L11swap_kernelIfiEEvT0_PT_S2_S4_S2_
; %bb.0:
	s_load_dword s12, s[4:5], 0x0
	s_waitcnt lgkmcnt(0)
	s_cmp_lt_i32 s12, 1
	s_cbranch_scc1 .LBB5_10
; %bb.1:
	s_clause 0x5
	s_load_dword s0, s[4:5], 0x34
	s_load_dword s1, s[4:5], 0x10
	s_load_dword s8, s[4:5], 0x20
	s_load_dword s7, s[4:5], 0x28
	s_load_dwordx2 s[2:3], s[4:5], 0x8
	s_load_dwordx2 s[4:5], s[4:5], 0x18
	s_waitcnt lgkmcnt(0)
	s_and_b32 s0, s0, 0xffff
	s_cmp_eq_u32 s1, 1
	v_mad_u64_u32 v[0:1], null, s6, s0, v[0:1]
	s_cselect_b32 s9, -1, 0
	s_cmp_eq_u32 s8, 1
	s_mul_i32 s6, s7, s0
	s_cselect_b32 s10, -1, 0
	s_and_b32 s7, s9, s10
	v_cmp_gt_i32_e64 s0, s12, v0
	s_and_b32 vcc_lo, exec_lo, s7
	s_mov_b32 s7, -1
	s_cbranch_vccnz .LBB5_6
; %bb.2:
	s_and_saveexec_b32 s7, s0
	s_cbranch_execz .LBB5_5
; %bb.3:
	v_mad_i64_i32 v[1:2], null, s8, v0, 0
	v_mad_i64_i32 v[3:4], null, s1, v0, 0
	v_mov_b32_e32 v5, v0
	s_mul_hi_i32 s9, s8, s6
	s_mul_i32 s8, s8, s6
	s_mul_hi_i32 s11, s1, s6
	v_lshlrev_b64 v[1:2], 2, v[1:2]
	s_mul_i32 s10, s1, s6
	v_lshlrev_b64 v[3:4], 2, v[3:4]
	s_lshl_b64 s[8:9], s[8:9], 2
	s_lshl_b64 s[10:11], s[10:11], 2
	s_mov_b32 s13, 0
	v_add_co_u32 v1, vcc_lo, s4, v1
	v_add_co_ci_u32_e64 v2, null, s5, v2, vcc_lo
	v_add_co_u32 v3, vcc_lo, s2, v3
	v_add_co_ci_u32_e64 v4, null, s3, v4, vcc_lo
	.p2align	6
.LBB5_4:                                ; =>This Inner Loop Header: Depth=1
	global_load_dword v6, v[3:4], off
	global_load_dword v7, v[1:2], off
	v_add_nc_u32_e32 v5, s6, v5
	s_waitcnt vmcnt(1)
	global_store_dword v[1:2], v6, off
	s_waitcnt vmcnt(0)
	global_store_dword v[3:4], v7, off
	v_add_co_u32 v1, s1, v1, s8
	v_cmp_le_i32_e32 vcc_lo, s12, v5
	v_add_co_ci_u32_e64 v2, null, s9, v2, s1
	v_add_co_u32 v3, s1, v3, s10
	v_add_co_ci_u32_e64 v4, null, s11, v4, s1
	s_or_b32 s13, vcc_lo, s13
	s_andn2_b32 exec_lo, exec_lo, s13
	s_cbranch_execnz .LBB5_4
.LBB5_5:
	s_or_b32 exec_lo, exec_lo, s7
	s_mov_b32 s7, 0
.LBB5_6:
	s_andn2_b32 vcc_lo, exec_lo, s7
	s_cbranch_vccnz .LBB5_10
; %bb.7:
	s_and_saveexec_b32 s1, s0
	s_cbranch_execz .LBB5_10
; %bb.8:
	v_ashrrev_i32_e32 v1, 31, v0
	s_ashr_i32 s7, s6, 31
	s_mov_b32 s1, 0
	s_lshl_b64 s[8:9], s[6:7], 2
	v_lshlrev_b64 v[1:2], 2, v[0:1]
	.p2align	6
.LBB5_9:                                ; =>This Inner Loop Header: Depth=1
	v_add_co_u32 v3, vcc_lo, s2, v1
	v_add_co_ci_u32_e64 v4, null, s3, v2, vcc_lo
	v_add_co_u32 v5, vcc_lo, s4, v1
	v_add_co_ci_u32_e64 v6, null, s5, v2, vcc_lo
	global_load_dword v7, v[3:4], off
	global_load_dword v8, v[5:6], off
	v_add_nc_u32_e32 v0, s6, v0
	v_add_co_u32 v1, s0, v1, s8
	v_add_co_ci_u32_e64 v2, null, s9, v2, s0
	v_cmp_le_i32_e32 vcc_lo, s12, v0
	s_waitcnt vmcnt(1)
	global_store_dword v[5:6], v7, off
	s_waitcnt vmcnt(0)
	global_store_dword v[3:4], v8, off
	s_or_b32 s1, vcc_lo, s1
	s_andn2_b32 exec_lo, exec_lo, s1
	s_cbranch_execnz .LBB5_9
.LBB5_10:
	s_endpgm
	.section	.rodata,"a",@progbits
	.p2align	6, 0x0
	.amdhsa_kernel _ZN9rocsolver6v33100L11swap_kernelIfiEEvT0_PT_S2_S4_S2_
		.amdhsa_group_segment_fixed_size 0
		.amdhsa_private_segment_fixed_size 0
		.amdhsa_kernarg_size 296
		.amdhsa_user_sgpr_count 6
		.amdhsa_user_sgpr_private_segment_buffer 1
		.amdhsa_user_sgpr_dispatch_ptr 0
		.amdhsa_user_sgpr_queue_ptr 0
		.amdhsa_user_sgpr_kernarg_segment_ptr 1
		.amdhsa_user_sgpr_dispatch_id 0
		.amdhsa_user_sgpr_flat_scratch_init 0
		.amdhsa_user_sgpr_private_segment_size 0
		.amdhsa_wavefront_size32 1
		.amdhsa_uses_dynamic_stack 0
		.amdhsa_system_sgpr_private_segment_wavefront_offset 0
		.amdhsa_system_sgpr_workgroup_id_x 1
		.amdhsa_system_sgpr_workgroup_id_y 0
		.amdhsa_system_sgpr_workgroup_id_z 0
		.amdhsa_system_sgpr_workgroup_info 0
		.amdhsa_system_vgpr_workitem_id 0
		.amdhsa_next_free_vgpr 9
		.amdhsa_next_free_sgpr 14
		.amdhsa_reserve_vcc 1
		.amdhsa_reserve_flat_scratch 0
		.amdhsa_float_round_mode_32 0
		.amdhsa_float_round_mode_16_64 0
		.amdhsa_float_denorm_mode_32 3
		.amdhsa_float_denorm_mode_16_64 3
		.amdhsa_dx10_clamp 1
		.amdhsa_ieee_mode 1
		.amdhsa_fp16_overflow 0
		.amdhsa_workgroup_processor_mode 1
		.amdhsa_memory_ordered 1
		.amdhsa_forward_progress 1
		.amdhsa_shared_vgpr_count 0
		.amdhsa_exception_fp_ieee_invalid_op 0
		.amdhsa_exception_fp_denorm_src 0
		.amdhsa_exception_fp_ieee_div_zero 0
		.amdhsa_exception_fp_ieee_overflow 0
		.amdhsa_exception_fp_ieee_underflow 0
		.amdhsa_exception_fp_ieee_inexact 0
		.amdhsa_exception_int_div_zero 0
	.end_amdhsa_kernel
	.section	.text._ZN9rocsolver6v33100L11swap_kernelIfiEEvT0_PT_S2_S4_S2_,"axG",@progbits,_ZN9rocsolver6v33100L11swap_kernelIfiEEvT0_PT_S2_S4_S2_,comdat
.Lfunc_end5:
	.size	_ZN9rocsolver6v33100L11swap_kernelIfiEEvT0_PT_S2_S4_S2_, .Lfunc_end5-_ZN9rocsolver6v33100L11swap_kernelIfiEEvT0_PT_S2_S4_S2_
                                        ; -- End function
	.set _ZN9rocsolver6v33100L11swap_kernelIfiEEvT0_PT_S2_S4_S2_.num_vgpr, 9
	.set _ZN9rocsolver6v33100L11swap_kernelIfiEEvT0_PT_S2_S4_S2_.num_agpr, 0
	.set _ZN9rocsolver6v33100L11swap_kernelIfiEEvT0_PT_S2_S4_S2_.numbered_sgpr, 14
	.set _ZN9rocsolver6v33100L11swap_kernelIfiEEvT0_PT_S2_S4_S2_.num_named_barrier, 0
	.set _ZN9rocsolver6v33100L11swap_kernelIfiEEvT0_PT_S2_S4_S2_.private_seg_size, 0
	.set _ZN9rocsolver6v33100L11swap_kernelIfiEEvT0_PT_S2_S4_S2_.uses_vcc, 1
	.set _ZN9rocsolver6v33100L11swap_kernelIfiEEvT0_PT_S2_S4_S2_.uses_flat_scratch, 0
	.set _ZN9rocsolver6v33100L11swap_kernelIfiEEvT0_PT_S2_S4_S2_.has_dyn_sized_stack, 0
	.set _ZN9rocsolver6v33100L11swap_kernelIfiEEvT0_PT_S2_S4_S2_.has_recursion, 0
	.set _ZN9rocsolver6v33100L11swap_kernelIfiEEvT0_PT_S2_S4_S2_.has_indirect_call, 0
	.section	.AMDGPU.csdata,"",@progbits
; Kernel info:
; codeLenInByte = 560
; TotalNumSgprs: 16
; NumVgprs: 9
; ScratchSize: 0
; MemoryBound: 0
; FloatMode: 240
; IeeeMode: 1
; LDSByteSize: 0 bytes/workgroup (compile time only)
; SGPRBlocks: 0
; VGPRBlocks: 1
; NumSGPRsForWavesPerEU: 16
; NumVGPRsForWavesPerEU: 9
; Occupancy: 16
; WaveLimiterHint : 0
; COMPUTE_PGM_RSRC2:SCRATCH_EN: 0
; COMPUTE_PGM_RSRC2:USER_SGPR: 6
; COMPUTE_PGM_RSRC2:TRAP_HANDLER: 0
; COMPUTE_PGM_RSRC2:TGID_X_EN: 1
; COMPUTE_PGM_RSRC2:TGID_Y_EN: 0
; COMPUTE_PGM_RSRC2:TGID_Z_EN: 0
; COMPUTE_PGM_RSRC2:TIDIG_COMP_CNT: 0
	.section	.text._ZN9rocsolver6v33100L12steqr_kernelIffPfEEviPT0_lS4_lT1_iilPiS4_iS3_S3_S3_,"axG",@progbits,_ZN9rocsolver6v33100L12steqr_kernelIffPfEEviPT0_lS4_lT1_iilPiS4_iS3_S3_S3_,comdat
	.globl	_ZN9rocsolver6v33100L12steqr_kernelIffPfEEviPT0_lS4_lT1_iilPiS4_iS3_S3_S3_ ; -- Begin function _ZN9rocsolver6v33100L12steqr_kernelIffPfEEviPT0_lS4_lT1_iilPiS4_iS3_S3_S3_
	.p2align	8
	.type	_ZN9rocsolver6v33100L12steqr_kernelIffPfEEviPT0_lS4_lT1_iilPiS4_iS3_S3_S3_,@function
_ZN9rocsolver6v33100L12steqr_kernelIffPfEEviPT0_lS4_lT1_iilPiS4_iS3_S3_S3_: ; @_ZN9rocsolver6v33100L12steqr_kernelIffPfEEviPT0_lS4_lT1_iilPiS4_iS3_S3_S3_
; %bb.0:
	s_clause 0x1
	s_load_dword s0, s[4:5], 0x6c
	s_load_dword s1, s[4:5], 0x60
	s_mov_b32 s28, s7
	s_waitcnt lgkmcnt(0)
	s_and_b32 s7, s0, 0xffff
	v_mad_u64_u32 v[0:1], null, s6, s7, v[0:1]
	v_cmp_eq_u32_e64 s0, 0, v0
	s_and_saveexec_b32 s2, s0
; %bb.1:
	v_mov_b32_e32 v1, 0
	ds_write2_b32 v1, v1, v1 offset0:3 offset1:7
; %bb.2:
	s_or_b32 exec_lo, exec_lo, s2
	s_load_dwordx8 s[16:23], s[4:5], 0x8
	v_mov_b32_e32 v35, 0
	s_load_dword s6, s[4:5], 0x0
	s_waitcnt lgkmcnt(0)
	s_barrier
	buffer_gl0_inv
	ds_read2_b32 v[1:2], v35 offset0:3 offset1:7
	s_clause 0x2
	s_load_dwordx4 s[24:27], s[4:5], 0x50
	s_load_dwordx8 s[8:15], s[4:5], 0x28
	s_load_dwordx2 s[2:3], s[4:5], 0x48
	s_ashr_i32 s29, s28, 31
	s_mul_i32 s30, s1, s7
	s_mul_hi_u32 s1, s18, s28
	s_mul_i32 s5, s18, s29
	s_mul_i32 s7, s19, s28
	s_add_i32 s1, s1, s5
	s_mul_i32 s4, s18, s28
	s_add_i32 s5, s1, s7
	s_mul_hi_u32 s31, s22, s28
	s_mul_i32 s33, s22, s29
	s_mul_i32 s34, s23, s28
	s_mul_i32 s38, s22, s28
	s_lshl_b64 s[22:23], s[4:5], 2
	s_waitcnt lgkmcnt(0)
	v_cmp_gt_i32_e32 vcc_lo, s6, v1
	v_cmp_gt_i32_e64 s1, s24, v2
	s_add_u32 s18, s16, s22
	s_addc_u32 s19, s17, s23
	s_add_i32 s5, s31, s33
	s_mul_hi_u32 s4, s12, s28
	s_add_i32 s39, s5, s34
	s_mul_i32 s5, s12, s29
	v_readfirstlane_b32 s56, v1
	s_and_b32 s1, vcc_lo, s1
	s_add_i32 s4, s4, s5
	s_mul_i32 s5, s13, s28
	s_ashr_i32 s35, s10, 31
	s_mov_b32 s34, s10
	s_add_i32 s13, s4, s5
	s_mul_i32 s12, s12, s28
	s_andn2_b32 vcc_lo, exec_lo, s1
	s_add_i32 s36, s6, -1
	s_cbranch_vccnz .LBB6_223
; %bb.3:
	s_lshl_b64 s[4:5], s[38:39], 2
	s_lshl_b32 s1, s6, 1
	s_add_u32 s10, s20, s4
	s_addc_u32 s33, s21, s5
	s_lshl_b64 s[4:5], s[12:13], 2
	s_mul_hi_i32 s41, s1, s28
	s_add_u32 s7, s8, s4
	s_addc_u32 s31, s9, s5
	s_lshl_b64 s[52:53], s[34:35], 2
	s_mul_i32 s40, s1, s28
	s_add_u32 s66, s7, s52
	s_addc_u32 s67, s31, s53
	s_lshl_b64 s[46:47], s[40:41], 2
	v_ashrrev_i32_e32 v1, 31, v0
	s_add_u32 s68, s2, s46
	s_addc_u32 s69, s3, s47
	s_ashr_i32 s7, s6, 31
	s_ashr_i32 s41, s11, 31
	s_add_u32 s70, s16, s22
	s_addc_u32 s71, s17, s23
	s_add_u32 s72, s70, 4
	s_addc_u32 s73, s71, 0
	s_ashr_i32 s31, s30, 31
	s_lshl_b64 s[42:43], s[6:7], 2
	s_lshl_b64 s[44:45], s[30:31], 2
	s_add_u32 s7, s46, s42
	s_addc_u32 s31, s47, s43
	s_add_u32 s2, s2, s7
	s_addc_u32 s3, s3, s31
	s_add_u32 s46, s2, -8
	s_addc_u32 s47, s3, -1
	s_add_u32 s48, s68, -4
	s_addc_u32 s49, s69, -1
	;; [unrolled: 2-line block ×3, first 2 shown]
	s_add_u32 s7, s42, -4
	v_lshlrev_b64 v[1:2], 2, v[0:1]
	s_addc_u32 s31, s43, -1
	s_add_u32 s2, s4, s52
	s_addc_u32 s3, s5, s53
	s_mov_b32 s40, s11
	s_add_u32 s2, s8, s2
	s_addc_u32 s3, s9, s3
	s_lshl_b64 s[52:53], s[40:41], 2
	v_add_co_u32 v37, vcc_lo, s2, v1
	v_mul_f32_e64 v36, s25, s25
	v_cmp_gt_i32_e64 s1, s6, v0
	v_add_co_ci_u32_e64 v38, null, s3, v2, vcc_lo
	s_sub_u32 s74, 0, s52
	s_subb_u32 s75, 0, s53
	s_add_u32 s76, s70, -4
	s_mov_b32 s54, 0x667f3bcd
	s_addc_u32 s77, s71, -1
	s_mov_b32 s5, 0
	s_mov_b32 s55, 0x3ff6a09e
                                        ; implicit-def: $vgpr41
                                        ; implicit-def: $vgpr9_vgpr10
                                        ; implicit-def: $vgpr11_vgpr12
                                        ; implicit-def: $vgpr13_vgpr14
                                        ; implicit-def: $vgpr1_vgpr2
                                        ; implicit-def: $vgpr40
                                        ; implicit-def: $vgpr7_vgpr8
                                        ; implicit-def: $vgpr39
                                        ; implicit-def: $vgpr3_vgpr4
                                        ; implicit-def: $vgpr5_vgpr6
	s_branch .LBB6_7
.LBB6_4:                                ;   in Loop: Header=BB6_7 Depth=1
	s_or_b32 exec_lo, exec_lo, s3
.LBB6_5:                                ;   in Loop: Header=BB6_7 Depth=1
	s_waitcnt_vscnt null, 0x0
	s_barrier
	buffer_gl0_inv
.LBB6_6:                                ;   in Loop: Header=BB6_7 Depth=1
	ds_read2_b32 v[15:16], v35 offset0:3 offset1:7
	s_waitcnt lgkmcnt(0)
	v_cmp_gt_i32_e32 vcc_lo, s6, v15
	v_cmp_gt_i32_e64 s2, s24, v16
	v_readfirstlane_b32 s56, v15
	s_and_b32 s2, vcc_lo, s2
	s_andn2_b32 vcc_lo, exec_lo, s2
	s_cbranch_vccnz .LBB6_223
.LBB6_7:                                ; =>This Loop Header: Depth=1
                                        ;     Child Loop BB6_15 Depth 2
                                        ;     Child Loop BB6_28 Depth 2
	;; [unrolled: 1-line block ×5, first 2 shown]
                                        ;       Child Loop BB6_153 Depth 3
                                        ;       Child Loop BB6_173 Depth 3
	;; [unrolled: 1-line block ×3, first 2 shown]
                                        ;         Child Loop BB6_221 Depth 4
                                        ;     Child Loop BB6_68 Depth 2
                                        ;       Child Loop BB6_75 Depth 3
                                        ;       Child Loop BB6_95 Depth 3
	;; [unrolled: 1-line block ×3, first 2 shown]
                                        ;         Child Loop BB6_143 Depth 4
                                        ;     Child Loop BB6_58 Depth 2
                                        ;     Child Loop BB6_65 Depth 2
	s_and_saveexec_b32 s4, s0
	s_cbranch_execz .LBB6_31
; %bb.8:                                ;   in Loop: Header=BB6_7 Depth=1
	s_cmp_lt_i32 s56, 1
	s_cbranch_scc1 .LBB6_10
; %bb.9:                                ;   in Loop: Header=BB6_7 Depth=1
	s_mov_b32 s57, s5
	s_lshl_b64 s[2:3], s[56:57], 2
	s_add_u32 s2, s10, s2
	s_addc_u32 s3, s33, s3
	global_store_dword v35, v35, s[2:3] offset:-4
.LBB6_10:                               ;   in Loop: Header=BB6_7 Depth=1
	s_mov_b32 s2, -1
	s_mov_b32 s62, 0
	s_cmp_lt_i32 s56, s36
	s_mov_b32 s78, 0
	s_cbranch_scc1 .LBB6_12
; %bb.11:                               ;   in Loop: Header=BB6_7 Depth=1
	s_ashr_i32 s57, s56, 31
	s_mov_b32 s2, 0
	s_mov_b32 s78, -1
.LBB6_12:                               ;   in Loop: Header=BB6_7 Depth=1
	s_andn2_b32 vcc_lo, exec_lo, s2
	s_cbranch_vccnz .LBB6_17
; %bb.13:                               ;   in Loop: Header=BB6_7 Depth=1
	s_ashr_i32 s57, s56, 31
	s_lshl_b64 s[2:3], s[56:57], 2
	s_mov_b64 s[62:63], s[56:57]
	s_add_u32 s64, s10, s2
	s_addc_u32 s65, s33, s3
	s_add_u32 s60, s72, s2
	s_addc_u32 s61, s73, s3
	s_branch .LBB6_15
.LBB6_14:                               ;   in Loop: Header=BB6_15 Depth=2
	s_andn2_b32 vcc_lo, exec_lo, s79
	s_cbranch_vccz .LBB6_18
.LBB6_15:                               ;   Parent Loop BB6_7 Depth=1
                                        ; =>  This Inner Loop Header: Depth=2
	s_clause 0x1
	global_load_dwordx2 v[9:10], v35, s[60:61] offset:-4
	global_load_dword v11, v35, s[64:65]
	s_mov_b64 s[58:59], s[64:65]
	s_mov_b32 s37, -1
	s_mov_b32 s79, -1
	s_waitcnt vmcnt(1)
	v_mul_f32_e64 v12, 0x4f800000, |v9|
	v_cmp_gt_f32_e64 vcc_lo, 0xf800000, |v9|
	v_mul_f32_e64 v13, 0x4f800000, |v10|
	v_cmp_gt_f32_e64 s2, 0xf800000, |v10|
	v_cndmask_b32_e64 v9, |v9|, v12, vcc_lo
	v_cndmask_b32_e64 v10, |v10|, v13, s2
	v_sqrt_f32_e32 v12, v9
	v_sqrt_f32_e32 v13, v10
	v_add_nc_u32_e32 v14, -1, v12
	v_add_nc_u32_e32 v16, 1, v12
	v_add_nc_u32_e32 v15, -1, v13
	v_add_nc_u32_e32 v17, 1, v13
	v_fma_f32 v18, -v14, v12, v9
	v_fma_f32 v20, -v16, v12, v9
	;; [unrolled: 1-line block ×4, first 2 shown]
	v_cmp_ge_f32_e64 s3, 0, v18
	v_cndmask_b32_e64 v12, v12, v14, s3
	v_cmp_ge_f32_e64 s3, 0, v19
	v_cndmask_b32_e64 v13, v13, v15, s3
	v_cmp_lt_f32_e64 s3, 0, v20
	v_cndmask_b32_e64 v12, v12, v16, s3
	v_cmp_lt_f32_e64 s3, 0, v21
	v_mul_f32_e32 v14, 0x37800000, v12
	v_cndmask_b32_e64 v13, v13, v17, s3
	v_cndmask_b32_e32 v12, v12, v14, vcc_lo
	v_mul_f32_e32 v15, 0x37800000, v13
	v_cmp_class_f32_e64 vcc_lo, v9, 0x260
	v_cndmask_b32_e64 v13, v13, v15, s2
	v_cndmask_b32_e32 v9, v12, v9, vcc_lo
	v_cmp_class_f32_e64 vcc_lo, v10, 0x260
	s_mov_b64 s[2:3], s[62:63]
                                        ; implicit-def: $sgpr62_sgpr63
	v_cndmask_b32_e32 v10, v13, v10, vcc_lo
	v_mul_f32_e32 v9, v9, v10
	v_mul_f32_e32 v9, s25, v9
	s_waitcnt vmcnt(0)
	v_cmp_nle_f32_e64 s64, |v11|, v9
	s_and_b32 vcc_lo, exec_lo, s64
                                        ; implicit-def: $sgpr64_sgpr65
	s_cbranch_vccz .LBB6_14
; %bb.16:                               ;   in Loop: Header=BB6_15 Depth=2
	s_add_u32 s62, s2, 1
	s_addc_u32 s63, s3, 0
	s_add_u32 s64, s58, 4
	s_addc_u32 s65, s59, 0
	;; [unrolled: 2-line block ×3, first 2 shown]
	s_cmp_ge_i32 s62, s36
	s_mov_b32 s37, 0
	s_cselect_b32 s79, -1, 0
	s_branch .LBB6_14
.LBB6_17:                               ;   in Loop: Header=BB6_7 Depth=1
	s_mov_b32 s2, s56
	s_mov_b64 s[60:61], s[56:57]
	s_and_b32 vcc_lo, exec_lo, s78
	s_cbranch_vccnz .LBB6_21
	s_branch .LBB6_22
.LBB6_18:                               ;   in Loop: Header=BB6_7 Depth=1
	s_xor_b32 s37, s37, -1
	s_mov_b32 s62, -1
	s_and_b32 vcc_lo, exec_lo, s37
                                        ; implicit-def: $sgpr60_sgpr61
	s_cbranch_vccz .LBB6_20
; %bb.19:                               ;   in Loop: Header=BB6_7 Depth=1
	s_ashr_i32 s37, s36, 31
	s_mov_b32 s78, -1
	s_mov_b32 s62, 0
	s_mov_b64 s[60:61], s[36:37]
.LBB6_20:                               ;   in Loop: Header=BB6_7 Depth=1
	v_mov_b32_e32 v10, s3
	v_mov_b32_e32 v11, s58
	;; [unrolled: 1-line block ×7, first 2 shown]
	s_mov_b32 s2, s36
	s_and_b32 vcc_lo, exec_lo, s78
	s_cbranch_vccz .LBB6_22
.LBB6_21:                               ;   in Loop: Header=BB6_7 Depth=1
	v_mov_b32_e32 v15, s2
	ds_write_b32 v35, v15 offset:4
.LBB6_22:                               ;   in Loop: Header=BB6_7 Depth=1
	v_mov_b32_e32 v15, s56
	v_mov_b32_e32 v17, s60
	;; [unrolled: 1-line block ×5, first 2 shown]
	s_andn2_b32 vcc_lo, exec_lo, s62
	s_cbranch_vccnz .LBB6_24
; %bb.23:                               ;   in Loop: Header=BB6_7 Depth=1
	v_mov_b32_e32 v16, v14
	v_mov_b32_e32 v18, v10
	;; [unrolled: 1-line block ×5, first 2 shown]
	ds_write_b32 v35, v41 offset:4
	global_store_dword v[11:12], v35, off
.LBB6_24:                               ;   in Loop: Header=BB6_7 Depth=1
	v_lshlrev_b64 v[20:21], 2, v[17:18]
	v_lshlrev_b64 v[17:18], 2, v[15:16]
	v_mov_b32_e32 v22, s56
	s_mov_b32 s2, exec_lo
	v_add_co_u32 v15, vcc_lo, s18, v20
	v_add_co_ci_u32_e64 v16, null, s19, v21, vcc_lo
	v_add_co_u32 v20, vcc_lo, s18, v17
	v_add_co_ci_u32_e64 v21, null, s19, v18, vcc_lo
	s_clause 0x1
	global_load_dword v15, v[15:16], off
	global_load_dword v16, v[20:21], off
	v_mov_b32_e32 v20, s56
	v_add_nc_u32_e32 v21, 1, v19
	ds_write2_b32 v35, v20, v19 offset1:5
	ds_write_b32 v35, v19 offset:32
	ds_write2_b32 v35, v21, v22 offset0:3 offset1:4
	s_waitcnt vmcnt(0)
	v_cmpx_lt_f32_e64 |v15|, |v16|
; %bb.25:                               ;   in Loop: Header=BB6_7 Depth=1
	v_mov_b32_e32 v16, s56
	ds_write2_b32 v35, v19, v16 offset1:5
; %bb.26:                               ;   in Loop: Header=BB6_7 Depth=1
	s_or_b32 exec_lo, exec_lo, s2
	v_and_b32_e32 v20, 0x7fffffff, v15
	s_mov_b32 s3, exec_lo
	v_cmpx_lt_i32_e64 s56, v19
	s_cbranch_execz .LBB6_30
; %bb.27:                               ;   in Loop: Header=BB6_7 Depth=1
	v_add_co_u32 v15, vcc_lo, s70, v17
	v_add_co_ci_u32_e64 v16, null, s71, v18, vcc_lo
	v_add_co_u32 v17, vcc_lo, s10, v17
	v_add_co_ci_u32_e64 v18, null, s33, v18, vcc_lo
	s_mov_b32 s37, 0
	.p2align	6
.LBB6_28:                               ;   Parent Loop BB6_7 Depth=1
                                        ; =>  This Inner Loop Header: Depth=2
	global_load_dword v21, v[15:16], off
	global_load_dword v22, v[17:18], off
	s_add_i32 s56, s56, 1
	v_add_co_u32 v15, vcc_lo, v15, 4
	v_add_co_ci_u32_e64 v16, null, 0, v16, vcc_lo
	v_add_co_u32 v17, vcc_lo, v17, 4
	v_cmp_ge_i32_e64 s2, s56, v19
	v_add_co_ci_u32_e64 v18, null, 0, v18, vcc_lo
	s_or_b32 s37, s2, s37
	s_waitcnt vmcnt(0)
	v_max3_f32 v20, v20, |v21|, |v22|
	s_andn2_b32 exec_lo, exec_lo, s37
	s_cbranch_execnz .LBB6_28
; %bb.29:                               ;   in Loop: Header=BB6_7 Depth=1
	s_or_b32 exec_lo, exec_lo, s37
.LBB6_30:                               ;   in Loop: Header=BB6_7 Depth=1
	s_or_b32 exec_lo, exec_lo, s3
	ds_write_b32 v35, v20 offset:24
.LBB6_31:                               ;   in Loop: Header=BB6_7 Depth=1
	s_or_b32 exec_lo, exec_lo, s4
	s_waitcnt lgkmcnt(0)
	s_waitcnt_vscnt null, 0x0
	s_barrier
	buffer_gl0_inv
	ds_read2_b32 v[15:16], v35 offset0:5 offset1:6
	ds_read_b32 v17, v35
	s_waitcnt lgkmcnt(1)
	v_cmp_eq_f32_e64 s2, 0, v16
	s_waitcnt lgkmcnt(0)
	v_cmp_eq_u32_e32 vcc_lo, v15, v17
	s_or_b32 s2, vcc_lo, s2
	s_and_b32 vcc_lo, exec_lo, s2
	s_cbranch_vccnz .LBB6_6
; %bb.32:                               ;   in Loop: Header=BB6_7 Depth=1
	v_cmp_nlt_f32_e32 vcc_lo, s27, v16
	s_mov_b32 s2, -1
	s_cbranch_vccz .LBB6_41
; %bb.33:                               ;   in Loop: Header=BB6_7 Depth=1
	v_cmp_ngt_f32_e32 vcc_lo, s26, v16
	s_cbranch_vccnz .LBB6_40
; %bb.34:                               ;   in Loop: Header=BB6_7 Depth=1
	v_div_scale_f32 v15, null, s26, s26, v16
	v_div_scale_f32 v20, vcc_lo, v16, s26, v16
	v_rcp_f32_e32 v19, v15
	v_fma_f32 v17, -v15, v19, 1.0
	v_fmac_f32_e32 v19, v17, v19
	ds_read2_b32 v[17:18], v35 offset0:4 offset1:8
	v_mul_f32_e32 v21, v20, v19
	v_fma_f32 v22, -v15, v21, v20
	v_fmac_f32_e32 v21, v22, v19
	v_fma_f32 v15, -v15, v21, v20
	v_div_fmas_f32 v15, v15, v19, v21
	v_div_fixup_f32 v15, v15, s26, v16
	s_and_saveexec_b32 s2, s0
	s_cbranch_execz .LBB6_36
; %bb.35:                               ;   in Loop: Header=BB6_7 Depth=1
	s_waitcnt lgkmcnt(0)
	v_ashrrev_i32_e32 v20, 31, v18
	v_mov_b32_e32 v19, v18
	v_lshlrev_b64 v[19:20], 2, v[19:20]
	v_add_co_u32 v19, vcc_lo, s18, v19
	v_add_co_ci_u32_e64 v20, null, s19, v20, vcc_lo
	global_load_dword v21, v[19:20], off
	s_waitcnt vmcnt(0)
	v_mul_f32_e32 v21, v15, v21
	global_store_dword v[19:20], v21, off
.LBB6_36:                               ;   in Loop: Header=BB6_7 Depth=1
	s_or_b32 exec_lo, exec_lo, s2
	s_waitcnt lgkmcnt(0)
	v_add_nc_u32_e32 v19, v17, v0
	s_mov_b32 s3, exec_lo
	v_cmpx_lt_i32_e64 v19, v18
	s_cbranch_execz .LBB6_39
; %bb.37:                               ;   in Loop: Header=BB6_7 Depth=1
	v_ashrrev_i32_e32 v20, 31, v19
	s_mov_b32 s4, 0
	v_lshlrev_b64 v[20:21], 2, v[19:20]
	.p2align	6
.LBB6_38:                               ;   Parent Loop BB6_7 Depth=1
                                        ; =>  This Inner Loop Header: Depth=2
	v_add_co_u32 v22, vcc_lo, s18, v20
	v_add_co_ci_u32_e64 v23, null, s19, v21, vcc_lo
	v_add_co_u32 v24, vcc_lo, s10, v20
	v_add_co_ci_u32_e64 v25, null, s33, v21, vcc_lo
	global_load_dword v17, v[22:23], off
	v_add_nc_u32_e32 v19, s30, v19
	v_add_co_u32 v20, vcc_lo, v20, s44
	v_add_co_ci_u32_e64 v21, null, s45, v21, vcc_lo
	v_cmp_ge_i32_e64 s2, v19, v18
	s_or_b32 s4, s2, s4
	s_waitcnt vmcnt(0)
	v_mul_f32_e32 v17, v15, v17
	global_store_dword v[22:23], v17, off
	global_load_dword v17, v[24:25], off
	s_waitcnt vmcnt(0)
	v_mul_f32_e32 v17, v15, v17
	global_store_dword v[24:25], v17, off
	s_andn2_b32 exec_lo, exec_lo, s4
	s_cbranch_execnz .LBB6_38
.LBB6_39:                               ;   in Loop: Header=BB6_7 Depth=1
	s_or_b32 exec_lo, exec_lo, s3
.LBB6_40:                               ;   in Loop: Header=BB6_7 Depth=1
	s_mov_b32 s2, 0
.LBB6_41:                               ;   in Loop: Header=BB6_7 Depth=1
	s_andn2_b32 vcc_lo, exec_lo, s2
	s_cbranch_vccnz .LBB6_48
; %bb.42:                               ;   in Loop: Header=BB6_7 Depth=1
	v_div_scale_f32 v15, null, s27, s27, v16
	v_div_scale_f32 v20, vcc_lo, v16, s27, v16
	v_rcp_f32_e32 v19, v15
	v_fma_f32 v17, -v15, v19, 1.0
	v_fmac_f32_e32 v19, v17, v19
	ds_read2_b32 v[17:18], v35 offset0:4 offset1:8
	v_mul_f32_e32 v21, v20, v19
	v_fma_f32 v22, -v15, v21, v20
	v_fmac_f32_e32 v21, v22, v19
	v_fma_f32 v15, -v15, v21, v20
	v_div_fmas_f32 v15, v15, v19, v21
	v_div_fixup_f32 v19, v15, s27, v16
	s_and_saveexec_b32 s2, s0
	s_cbranch_execz .LBB6_44
; %bb.43:                               ;   in Loop: Header=BB6_7 Depth=1
	s_waitcnt lgkmcnt(0)
	v_ashrrev_i32_e32 v16, 31, v18
	v_mov_b32_e32 v15, v18
	v_lshlrev_b64 v[15:16], 2, v[15:16]
	v_add_co_u32 v15, vcc_lo, s18, v15
	v_add_co_ci_u32_e64 v16, null, s19, v16, vcc_lo
	global_load_dword v20, v[15:16], off
	s_waitcnt vmcnt(0)
	v_mul_f32_e32 v20, v19, v20
	global_store_dword v[15:16], v20, off
.LBB6_44:                               ;   in Loop: Header=BB6_7 Depth=1
	s_or_b32 exec_lo, exec_lo, s2
	s_waitcnt lgkmcnt(0)
	v_add_nc_u32_e32 v15, v17, v0
	s_mov_b32 s3, exec_lo
	v_cmpx_lt_i32_e64 v15, v18
	s_cbranch_execz .LBB6_47
; %bb.45:                               ;   in Loop: Header=BB6_7 Depth=1
	v_ashrrev_i32_e32 v16, 31, v15
	s_mov_b32 s4, 0
	v_lshlrev_b64 v[16:17], 2, v[15:16]
	.p2align	6
.LBB6_46:                               ;   Parent Loop BB6_7 Depth=1
                                        ; =>  This Inner Loop Header: Depth=2
	v_add_co_u32 v20, vcc_lo, s18, v16
	v_add_co_ci_u32_e64 v21, null, s19, v17, vcc_lo
	v_add_co_u32 v22, vcc_lo, s10, v16
	v_add_nc_u32_e32 v15, s30, v15
	global_load_dword v23, v[20:21], off
	v_cmp_ge_i32_e64 s2, v15, v18
	s_or_b32 s4, s2, s4
	s_waitcnt vmcnt(0)
	v_mul_f32_e32 v24, v19, v23
	v_add_co_ci_u32_e64 v23, null, s33, v17, vcc_lo
	v_add_co_u32 v16, vcc_lo, v16, s44
	global_store_dword v[20:21], v24, off
	global_load_dword v20, v[22:23], off
	v_add_co_ci_u32_e64 v17, null, s45, v17, vcc_lo
	s_waitcnt vmcnt(0)
	v_mul_f32_e32 v20, v19, v20
	global_store_dword v[22:23], v20, off
	s_andn2_b32 exec_lo, exec_lo, s4
	s_cbranch_execnz .LBB6_46
.LBB6_47:                               ;   in Loop: Header=BB6_7 Depth=1
	s_or_b32 exec_lo, exec_lo, s3
.LBB6_48:                               ;   in Loop: Header=BB6_7 Depth=1
	s_waitcnt_vscnt null, 0x0
	s_barrier
	buffer_gl0_inv
	ds_read_b32 v18, v35 offset:28
	ds_read2_b32 v[15:16], v35 offset1:5
	s_mov_b32 s4, -1
                                        ; implicit-def: $vgpr21_vgpr22
	s_waitcnt lgkmcnt(1)
	v_cmp_gt_i32_e64 s2, s24, v18
	s_waitcnt lgkmcnt(0)
	v_cmp_lt_i32_e32 vcc_lo, v16, v15
	v_mov_b32_e32 v17, v16
                                        ; implicit-def: $vgpr16
	v_cndmask_b32_e64 v19, 0, 1, s2
	v_cmp_ne_u32_e64 s3, 1, v19
                                        ; implicit-def: $vgpr19_vgpr20
	s_cbranch_vccnz .LBB6_51
; %bb.49:                               ;   in Loop: Header=BB6_7 Depth=1
	v_mov_b32_e32 v22, v6
	v_mov_b32_e32 v20, v4
	;; [unrolled: 1-line block ×8, first 2 shown]
	s_and_b32 vcc_lo, exec_lo, s3
	s_cbranch_vccz .LBB6_147
.LBB6_50:                               ;   in Loop: Header=BB6_7 Depth=1
	s_mov_b32 s4, 0
.LBB6_51:                               ;   in Loop: Header=BB6_7 Depth=1
	s_andn2_b32 vcc_lo, exec_lo, s4
	s_cbranch_vccz .LBB6_68
; %bb.52:                               ;   in Loop: Header=BB6_7 Depth=1
	v_mov_b32_e32 v3, v19
	v_mov_b32_e32 v5, v21
	;; [unrolled: 1-line block ×5, first 2 shown]
.LBB6_53:                               ;   in Loop: Header=BB6_7 Depth=1
	s_barrier
	buffer_gl0_inv
	ds_read_b32 v20, v35 offset:24
	s_waitcnt lgkmcnt(0)
	v_cmp_nlt_f32_e32 vcc_lo, s27, v20
	s_cbranch_vccnz .LBB6_60
; %bb.54:                               ;   in Loop: Header=BB6_7 Depth=1
	v_div_scale_f32 v17, null, v20, v20, s27
	v_div_scale_f32 v19, vcc_lo, s27, v20, s27
	v_rcp_f32_e32 v18, v17
	v_fma_f32 v15, -v17, v18, 1.0
	v_fmac_f32_e32 v18, v15, v18
	ds_read2_b32 v[15:16], v35 offset0:4 offset1:8
	v_mul_f32_e32 v21, v19, v18
	v_fma_f32 v22, -v17, v21, v19
	v_fmac_f32_e32 v21, v22, v18
	v_fma_f32 v17, -v17, v21, v19
	v_div_fmas_f32 v17, v17, v18, v21
	v_div_fixup_f32 v21, v17, v20, s27
	s_and_saveexec_b32 s2, s0
	s_cbranch_execz .LBB6_56
; %bb.55:                               ;   in Loop: Header=BB6_7 Depth=1
	s_waitcnt lgkmcnt(0)
	v_ashrrev_i32_e32 v18, 31, v16
	v_mov_b32_e32 v17, v16
	v_lshlrev_b64 v[17:18], 2, v[17:18]
	v_add_co_u32 v17, vcc_lo, s18, v17
	v_add_co_ci_u32_e64 v18, null, s19, v18, vcc_lo
	global_load_dword v19, v[17:18], off
	s_waitcnt vmcnt(0)
	v_mul_f32_e32 v19, v21, v19
	global_store_dword v[17:18], v19, off
.LBB6_56:                               ;   in Loop: Header=BB6_7 Depth=1
	s_or_b32 exec_lo, exec_lo, s2
	s_waitcnt lgkmcnt(0)
	v_add_nc_u32_e32 v17, v15, v0
	s_mov_b32 s3, exec_lo
	v_cmpx_lt_i32_e64 v17, v16
	s_cbranch_execz .LBB6_59
; %bb.57:                               ;   in Loop: Header=BB6_7 Depth=1
	v_ashrrev_i32_e32 v18, 31, v17
	s_mov_b32 s4, 0
	v_lshlrev_b64 v[18:19], 2, v[17:18]
	.p2align	6
.LBB6_58:                               ;   Parent Loop BB6_7 Depth=1
                                        ; =>  This Inner Loop Header: Depth=2
	v_add_co_u32 v22, vcc_lo, s18, v18
	v_add_co_ci_u32_e64 v23, null, s19, v19, vcc_lo
	v_add_co_u32 v24, vcc_lo, s10, v18
	v_add_co_ci_u32_e64 v25, null, s33, v19, vcc_lo
	global_load_dword v15, v[22:23], off
	v_add_nc_u32_e32 v17, s30, v17
	v_add_co_u32 v18, vcc_lo, v18, s44
	v_add_co_ci_u32_e64 v19, null, s45, v19, vcc_lo
	v_cmp_ge_i32_e64 s2, v17, v16
	s_or_b32 s4, s2, s4
	s_waitcnt vmcnt(0)
	v_mul_f32_e32 v15, v21, v15
	global_store_dword v[22:23], v15, off
	global_load_dword v15, v[24:25], off
	s_waitcnt vmcnt(0)
	v_mul_f32_e32 v15, v21, v15
	global_store_dword v[24:25], v15, off
	s_andn2_b32 exec_lo, exec_lo, s4
	s_cbranch_execnz .LBB6_58
.LBB6_59:                               ;   in Loop: Header=BB6_7 Depth=1
	s_or_b32 exec_lo, exec_lo, s3
.LBB6_60:                               ;   in Loop: Header=BB6_7 Depth=1
	v_cmp_ngt_f32_e32 vcc_lo, s26, v20
	s_cbranch_vccnz .LBB6_5
; %bb.61:                               ;   in Loop: Header=BB6_7 Depth=1
	v_div_scale_f32 v17, null, v20, v20, s26
	v_div_scale_f32 v19, vcc_lo, s26, v20, s26
	v_rcp_f32_e32 v18, v17
	v_fma_f32 v15, -v17, v18, 1.0
	v_fmac_f32_e32 v18, v15, v18
	ds_read2_b32 v[15:16], v35 offset0:4 offset1:8
	v_mul_f32_e32 v21, v19, v18
	v_fma_f32 v22, -v17, v21, v19
	v_fmac_f32_e32 v21, v22, v18
	v_fma_f32 v17, -v17, v21, v19
	v_div_fmas_f32 v17, v17, v18, v21
	v_div_fixup_f32 v20, v17, v20, s26
	s_and_saveexec_b32 s2, s0
	s_cbranch_execz .LBB6_63
; %bb.62:                               ;   in Loop: Header=BB6_7 Depth=1
	s_waitcnt lgkmcnt(0)
	v_ashrrev_i32_e32 v18, 31, v16
	v_mov_b32_e32 v17, v16
	v_lshlrev_b64 v[17:18], 2, v[17:18]
	v_add_co_u32 v17, vcc_lo, s18, v17
	v_add_co_ci_u32_e64 v18, null, s19, v18, vcc_lo
	global_load_dword v19, v[17:18], off
	s_waitcnt vmcnt(0)
	v_mul_f32_e32 v19, v20, v19
	global_store_dword v[17:18], v19, off
.LBB6_63:                               ;   in Loop: Header=BB6_7 Depth=1
	s_or_b32 exec_lo, exec_lo, s2
	s_waitcnt lgkmcnt(0)
	v_add_nc_u32_e32 v17, v15, v0
	s_mov_b32 s3, exec_lo
	v_cmpx_lt_i32_e64 v17, v16
	s_cbranch_execz .LBB6_4
; %bb.64:                               ;   in Loop: Header=BB6_7 Depth=1
	v_ashrrev_i32_e32 v18, 31, v17
	s_mov_b32 s4, 0
	v_lshlrev_b64 v[18:19], 2, v[17:18]
	.p2align	6
.LBB6_65:                               ;   Parent Loop BB6_7 Depth=1
                                        ; =>  This Inner Loop Header: Depth=2
	v_add_co_u32 v21, vcc_lo, s18, v18
	v_add_co_ci_u32_e64 v22, null, s19, v19, vcc_lo
	v_add_co_u32 v23, vcc_lo, s10, v18
	v_add_co_ci_u32_e64 v24, null, s33, v19, vcc_lo
	global_load_dword v15, v[21:22], off
	v_add_nc_u32_e32 v17, s30, v17
	v_add_co_u32 v18, vcc_lo, v18, s44
	v_add_co_ci_u32_e64 v19, null, s45, v19, vcc_lo
	v_cmp_ge_i32_e64 s2, v17, v16
	s_or_b32 s4, s2, s4
	s_waitcnt vmcnt(0)
	v_mul_f32_e32 v15, v20, v15
	global_store_dword v[21:22], v15, off
	global_load_dword v15, v[23:24], off
	s_waitcnt vmcnt(0)
	v_mul_f32_e32 v15, v20, v15
	global_store_dword v[23:24], v15, off
	s_andn2_b32 exec_lo, exec_lo, s4
	s_cbranch_execnz .LBB6_65
	s_branch .LBB6_4
.LBB6_66:                               ;   in Loop: Header=BB6_68 Depth=2
	s_or_b32 exec_lo, exec_lo, s4
	s_waitcnt_vscnt null, 0x0
	s_barrier
	buffer_gl0_inv
	ds_read_b32 v15, v35
.LBB6_67:                               ;   in Loop: Header=BB6_68 Depth=2
	ds_read2_b32 v[17:18], v35 offset0:5 offset1:7
	s_waitcnt lgkmcnt(0)
	v_cmp_ge_i32_e32 vcc_lo, v15, v17
	v_cmp_gt_i32_e64 s2, s24, v18
	s_and_b32 s2, vcc_lo, s2
.LBB6_68:                               ;   Parent Loop BB6_7 Depth=1
                                        ; =>  This Loop Header: Depth=2
                                        ;       Child Loop BB6_75 Depth 3
                                        ;       Child Loop BB6_95 Depth 3
	;; [unrolled: 1-line block ×3, first 2 shown]
                                        ;         Child Loop BB6_143 Depth 4
	s_andn2_b32 vcc_lo, exec_lo, s2
	s_cbranch_vccnz .LBB6_53
; %bb.69:                               ;   in Loop: Header=BB6_68 Depth=2
	s_and_saveexec_b32 s4, s0
	s_cbranch_execz .LBB6_138
; %bb.70:                               ;   in Loop: Header=BB6_68 Depth=2
	v_cmp_gt_i32_e32 vcc_lo, v15, v17
	s_mov_b32 s2, 0
	s_cbranch_vccnz .LBB6_72
; %bb.71:                               ;   in Loop: Header=BB6_68 Depth=2
	v_ashrrev_i32_e32 v16, 31, v15
	s_mov_b32 s3, -1
	v_mov_b32_e32 v21, v16
	v_mov_b32_e32 v20, v15
	;; [unrolled: 1-line block ×3, first 2 shown]
	s_cbranch_execz .LBB6_73
	s_branch .LBB6_78
.LBB6_72:                               ;   in Loop: Header=BB6_68 Depth=2
	s_mov_b32 s3, 0
                                        ; implicit-def: $vgpr20_vgpr21
	v_mov_b32_e32 v19, v15
.LBB6_73:                               ;   in Loop: Header=BB6_68 Depth=2
	v_ashrrev_i32_e32 v16, 31, v15
	v_mov_b32_e32 v19, v15
	v_lshlrev_b64 v[7:8], 2, v[15:16]
	v_add_co_u32 v1, vcc_lo, s10, v7
	v_add_co_ci_u32_e64 v2, null, s33, v8, vcc_lo
	v_add_co_u32 v7, vcc_lo, s76, v7
	v_add_co_ci_u32_e64 v8, null, s77, v8, vcc_lo
	s_branch .LBB6_75
	.p2align	6
.LBB6_74:                               ;   in Loop: Header=BB6_75 Depth=3
	v_add_nc_u32_e32 v19, -1, v40
	v_add_co_u32 v7, vcc_lo, v7, -4
	v_add_co_ci_u32_e64 v8, null, -1, v8, vcc_lo
	v_cmp_le_i32_e64 s3, v19, v17
	s_mov_b32 s2, 0
	v_add_co_u32 v1, vcc_lo, v1, -4
	v_add_co_ci_u32_e64 v2, null, -1, v2, vcc_lo
	s_andn2_b32 vcc_lo, exec_lo, s3
	s_cbranch_vccz .LBB6_77
.LBB6_75:                               ;   Parent Loop BB6_7 Depth=1
                                        ;     Parent Loop BB6_68 Depth=2
                                        ; =>    This Inner Loop Header: Depth=3
	global_load_dwordx2 v[20:21], v[7:8], off
	global_load_dword v22, v[1:2], off offset:-4
	v_mov_b32_e32 v40, v19
	s_waitcnt vmcnt(1)
	v_mul_f32_e32 v20, v21, v20
	s_waitcnt vmcnt(0)
	v_mul_f32_e32 v21, v22, v22
	v_mul_f32_e64 v20, v36, |v20|
	v_cmp_le_f32_e64 s2, |v21|, v20
	s_and_b32 vcc_lo, exec_lo, s2
	s_cbranch_vccz .LBB6_74
; %bb.76:                               ;   in Loop: Header=BB6_68 Depth=2
	s_mov_b32 s2, -1
                                        ; implicit-def: $vgpr19
                                        ; implicit-def: $vgpr7_vgpr8
	v_add_co_u32 v1, vcc_lo, v1, -4
	v_add_co_ci_u32_e64 v2, null, -1, v2, vcc_lo
.LBB6_77:                               ;   in Loop: Header=BB6_68 Depth=2
	v_mov_b32_e32 v7, v15
	v_mov_b32_e32 v21, v16
	;; [unrolled: 1-line block ×5, first 2 shown]
	s_xor_b32 s3, s2, -1
	s_mov_b32 s2, -1
.LBB6_78:                               ;   in Loop: Header=BB6_68 Depth=2
	s_and_b32 vcc_lo, exec_lo, s3
	s_cbranch_vccnz .LBB6_107
; %bb.79:                               ;   in Loop: Header=BB6_68 Depth=2
	s_andn2_b32 vcc_lo, exec_lo, s2
	s_cbranch_vccnz .LBB6_81
.LBB6_80:                               ;   in Loop: Header=BB6_68 Depth=2
	v_mov_b32_e32 v21, v8
	v_mov_b32_e32 v20, v7
	;; [unrolled: 1-line block ×3, first 2 shown]
	ds_write2_b32 v35, v40, v15 offset0:1 offset1:4
	global_store_dword v[1:2], v35, off
.LBB6_81:                               ;   in Loop: Header=BB6_68 Depth=2
	v_lshlrev_b64 v[21:22], 2, v[20:21]
	v_add_nc_u32_e32 v20, -1, v15
	s_mov_b32 s2, exec_lo
	v_add_co_u32 v16, vcc_lo, s18, v21
	v_add_co_ci_u32_e64 v17, null, s19, v22, vcc_lo
	global_load_dword v27, v[16:17], off
	s_waitcnt vmcnt(0)
	ds_write_b32 v35, v27 offset:8
	v_cmpx_ne_u32_e64 v19, v15
	s_xor_b32 s37, exec_lo, s2
	s_cbranch_execz .LBB6_135
; %bb.82:                               ;   in Loop: Header=BB6_68 Depth=2
	s_mov_b32 s2, exec_lo
	v_cmpx_ne_u32_e64 v19, v20
	s_xor_b32 s3, exec_lo, s2
	s_cbranch_execz .LBB6_111
; %bb.83:                               ;   in Loop: Header=BB6_68 Depth=2
	v_add_co_u32 v21, vcc_lo, s10, v21
	v_add_co_ci_u32_e64 v22, null, s33, v22, vcc_lo
	v_ashrrev_i32_e32 v20, 31, v19
	v_add_nc_u32_e32 v18, 1, v18
	global_load_dword v29, v[16:17], off offset:-4
	global_load_dword v30, v[21:22], off offset:-4
	s_mov_b32 s56, exec_lo
	v_lshlrev_b64 v[25:26], 2, v[19:20]
	ds_write2_b32 v35, v35, v18 offset0:2 offset1:7
	v_add_co_u32 v23, vcc_lo, s18, v25
	v_add_co_ci_u32_e64 v24, null, s19, v26, vcc_lo
	global_load_dword v28, v[23:24], off
	s_waitcnt vmcnt(2)
	v_sub_f32_e32 v20, v29, v27
	s_waitcnt vmcnt(1)
	v_add_f32_e32 v29, v30, v30
	v_div_scale_f32 v31, null, v29, v29, v20
	v_div_scale_f32 v34, vcc_lo, v20, v29, v20
	v_rcp_f32_e32 v32, v31
	v_fma_f32 v33, -v31, v32, 1.0
	v_fmac_f32_e32 v32, v33, v32
	v_mul_f32_e32 v33, v34, v32
	v_fma_f32 v42, -v31, v33, v34
	v_fmac_f32_e32 v33, v42, v32
	v_fma_f32 v31, -v31, v33, v34
	v_div_fmas_f32 v31, v31, v32, v33
	v_div_fixup_f32 v20, v31, v29, v20
	v_fma_f32 v29, v20, v20, 1.0
	v_mul_f32_e32 v31, 0x4f800000, v29
	v_cmp_gt_f32_e32 vcc_lo, 0xf800000, v29
	v_cndmask_b32_e32 v29, v29, v31, vcc_lo
	v_sqrt_f32_e32 v31, v29
	v_add_nc_u32_e32 v32, -1, v31
	v_add_nc_u32_e32 v33, 1, v31
	v_fma_f32 v34, -v32, v31, v29
	v_fma_f32 v42, -v33, v31, v29
	v_cmp_ge_f32_e64 s2, 0, v34
	v_cndmask_b32_e64 v31, v31, v32, s2
	v_cmp_lt_f32_e64 s2, 0, v42
	v_cndmask_b32_e64 v31, v31, v33, s2
	v_mul_f32_e32 v32, 0x37800000, v31
	v_cndmask_b32_e32 v31, v31, v32, vcc_lo
	v_cmp_class_f32_e64 vcc_lo, v29, 0x260
	v_cndmask_b32_e32 v29, v31, v29, vcc_lo
	v_cmp_nle_f32_e32 vcc_lo, 0, v20
	v_cndmask_b32_e64 v29, |v29|, -|v29|, vcc_lo
	v_add_f32_e32 v20, v20, v29
	v_div_scale_f32 v29, null, v20, v20, v30
	v_div_scale_f32 v33, vcc_lo, v30, v20, v30
	v_rcp_f32_e32 v31, v29
	v_fma_f32 v32, -v29, v31, 1.0
	v_fmac_f32_e32 v31, v32, v31
	v_mul_f32_e32 v32, v33, v31
	v_fma_f32 v34, -v29, v32, v33
	v_fmac_f32_e32 v32, v34, v31
	v_fma_f32 v29, -v29, v32, v33
	v_div_fmas_f32 v29, v29, v31, v32
	s_waitcnt vmcnt(0)
	v_sub_f32_e32 v31, v28, v27
	v_div_fixup_f32 v20, v29, v20, v30
	v_mov_b32_e32 v29, 0
	v_add_f32_e32 v20, v31, v20
	v_cmpx_lt_i32_e64 v19, v15
	s_cbranch_execz .LBB6_110
; %bb.84:                               ;   in Loop: Header=BB6_68 Depth=2
	v_add_co_u32 v29, vcc_lo, s10, v25
	v_add_co_ci_u32_e64 v30, null, s33, v26, vcc_lo
	v_mov_b32_e32 v32, 0
	v_mov_b32_e32 v18, 1.0
	s_mov_b32 s57, exec_lo
	global_load_dword v30, v[29:30], off
	s_waitcnt vmcnt(0)
	v_cmpx_neq_f32_e32 0, v30
	s_cbranch_execz .LBB6_92
; %bb.85:                               ;   in Loop: Header=BB6_68 Depth=2
	v_mov_b32_e32 v18, 0
	v_mov_b32_e32 v32, 1.0
	s_mov_b32 s58, exec_lo
	v_cmpx_neq_f32_e32 0, v20
	s_cbranch_execz .LBB6_91
; %bb.86:                               ;   in Loop: Header=BB6_68 Depth=2
	s_mov_b32 s59, exec_lo
                                        ; implicit-def: $vgpr32
                                        ; implicit-def: $vgpr18
	v_cmpx_ngt_f32_e64 |v30|, |v20|
	s_xor_b32 s59, exec_lo, s59
	s_cbranch_execz .LBB6_88
; %bb.87:                               ;   in Loop: Header=BB6_68 Depth=2
	v_div_scale_f32 v18, null, v20, v20, -v30
	v_div_scale_f32 v31, vcc_lo, -v30, v20, -v30
	v_rcp_f32_e32 v27, v18
	v_fma_f32 v29, -v18, v27, 1.0
	v_fmac_f32_e32 v27, v29, v27
	v_mul_f32_e32 v29, v31, v27
	v_fma_f32 v32, -v18, v29, v31
	v_fmac_f32_e32 v29, v32, v27
	v_fma_f32 v18, -v18, v29, v31
	v_div_fmas_f32 v18, v18, v27, v29
	v_div_fixup_f32 v20, v18, v20, -v30
	v_fma_f32 v18, v20, v20, 1.0
	v_mul_f32_e32 v27, 0x4f800000, v18
	v_cmp_gt_f32_e32 vcc_lo, 0xf800000, v18
	v_cndmask_b32_e32 v18, v18, v27, vcc_lo
	v_sqrt_f32_e32 v27, v18
	v_add_nc_u32_e32 v29, -1, v27
	v_add_nc_u32_e32 v31, 1, v27
	v_fma_f32 v32, -v29, v27, v18
	v_fma_f32 v33, -v31, v27, v18
	v_cmp_ge_f32_e64 s2, 0, v32
	v_cndmask_b32_e64 v27, v27, v29, s2
	v_cmp_lt_f32_e64 s2, 0, v33
	v_cndmask_b32_e64 v27, v27, v31, s2
	v_mul_f32_e32 v29, 0x37800000, v27
	v_cndmask_b32_e32 v27, v27, v29, vcc_lo
	v_cmp_class_f32_e64 vcc_lo, v18, 0x260
	v_cndmask_b32_e32 v18, v27, v18, vcc_lo
	v_div_scale_f32 v27, null, v18, v18, 1.0
	v_rcp_f32_e32 v29, v27
	v_fma_f32 v31, -v27, v29, 1.0
	v_fmac_f32_e32 v29, v31, v29
	v_div_scale_f32 v31, vcc_lo, 1.0, v18, 1.0
	v_mul_f32_e32 v32, v31, v29
	v_fma_f32 v33, -v27, v32, v31
	v_fmac_f32_e32 v32, v33, v29
	v_fma_f32 v27, -v27, v32, v31
	v_div_fmas_f32 v27, v27, v29, v32
	v_div_fixup_f32 v18, v27, v18, 1.0
	v_mul_f32_e32 v32, v20, v18
                                        ; implicit-def: $vgpr20
.LBB6_88:                               ;   in Loop: Header=BB6_68 Depth=2
	s_andn2_saveexec_b32 s59, s59
	s_cbranch_execz .LBB6_90
; %bb.89:                               ;   in Loop: Header=BB6_68 Depth=2
	v_div_scale_f32 v18, null, v30, v30, -v20
	v_div_scale_f32 v31, vcc_lo, -v20, v30, -v20
	v_rcp_f32_e32 v27, v18
	v_fma_f32 v29, -v18, v27, 1.0
	v_fmac_f32_e32 v27, v29, v27
	v_mul_f32_e32 v29, v31, v27
	v_fma_f32 v32, -v18, v29, v31
	v_fmac_f32_e32 v29, v32, v27
	v_fma_f32 v18, -v18, v29, v31
	v_div_fmas_f32 v18, v18, v27, v29
	v_div_fixup_f32 v18, v18, v30, -v20
	v_fma_f32 v20, v18, v18, 1.0
	v_mul_f32_e32 v27, 0x4f800000, v20
	v_cmp_gt_f32_e32 vcc_lo, 0xf800000, v20
	v_cndmask_b32_e32 v20, v20, v27, vcc_lo
	v_sqrt_f32_e32 v27, v20
	v_add_nc_u32_e32 v29, -1, v27
	v_add_nc_u32_e32 v31, 1, v27
	v_fma_f32 v32, -v29, v27, v20
	v_fma_f32 v33, -v31, v27, v20
	v_cmp_ge_f32_e64 s2, 0, v32
	v_cndmask_b32_e64 v27, v27, v29, s2
	v_cmp_lt_f32_e64 s2, 0, v33
	v_cndmask_b32_e64 v27, v27, v31, s2
	v_mul_f32_e32 v29, 0x37800000, v27
	v_cndmask_b32_e32 v27, v27, v29, vcc_lo
	v_cmp_class_f32_e64 vcc_lo, v20, 0x260
	v_cndmask_b32_e32 v20, v27, v20, vcc_lo
	v_div_scale_f32 v27, null, v20, v20, 1.0
	v_rcp_f32_e32 v29, v27
	v_fma_f32 v31, -v27, v29, 1.0
	v_fmac_f32_e32 v29, v31, v29
	v_div_scale_f32 v31, vcc_lo, 1.0, v20, 1.0
	v_mul_f32_e32 v32, v31, v29
	v_fma_f32 v33, -v27, v32, v31
	v_fmac_f32_e32 v32, v33, v29
	v_fma_f32 v27, -v27, v32, v31
	v_div_fmas_f32 v27, v27, v29, v32
	v_div_fixup_f32 v32, v27, v20, 1.0
	v_mul_f32_e32 v18, v18, v32
.LBB6_90:                               ;   in Loop: Header=BB6_68 Depth=2
	s_or_b32 exec_lo, exec_lo, s59
.LBB6_91:                               ;   in Loop: Header=BB6_68 Depth=2
	s_or_b32 exec_lo, exec_lo, s58
.LBB6_92:                               ;   in Loop: Header=BB6_68 Depth=2
	s_or_b32 exec_lo, exec_lo, s57
	global_load_dword v20, v[23:24], off offset:4
	v_add_f32_e32 v29, v18, v18
	v_add_co_u32 v25, vcc_lo, s68, v25
	v_add_co_ci_u32_e64 v26, null, s69, v26, vcc_lo
	v_xor_b32_e32 v31, 0x80000000, v32
	v_add_nc_u32_e32 v27, 1, v19
	s_mov_b32 s57, exec_lo
	s_waitcnt vmcnt(0)
	v_sub_f32_e32 v20, v20, v28
	v_mul_f32_e32 v20, v32, v20
	v_fma_f32 v20, v30, v29, -v20
	v_mul_f32_e64 v29, v20, -v32
	v_fma_f32 v28, v20, -v32, v28
	v_add_co_u32 v32, vcc_lo, v25, s42
	v_fma_f32 v20, v18, v20, -v30
	v_add_co_ci_u32_e64 v33, null, s43, v26, vcc_lo
	ds_write_b32 v35, v29 offset:8
	global_store_dword v[23:24], v28, off
	global_store_dword v[25:26], v18, off
	global_store_dword v[32:33], v31, off offset:-4
	v_cmpx_lt_i32_e64 v27, v15
	s_cbranch_execz .LBB6_109
; %bb.93:                               ;   in Loop: Header=BB6_68 Depth=2
	v_ashrrev_i32_e32 v28, 31, v27
	s_mov_b32 s59, 1
	s_mov_b32 s58, 0
	v_lshlrev_b64 v[27:28], 2, v[27:28]
	v_add_co_u32 v23, vcc_lo, s68, v27
	v_add_co_ci_u32_e64 v24, null, s69, v28, vcc_lo
	v_add_co_u32 v25, vcc_lo, s50, v27
	v_add_co_ci_u32_e64 v26, null, s51, v28, vcc_lo
	;; [unrolled: 2-line block ×3, first 2 shown]
	s_branch .LBB6_95
.LBB6_94:                               ;   in Loop: Header=BB6_95 Depth=3
	global_load_dwordx2 v[42:43], v[27:28], off
	v_mul_f32_e32 v18, v18, v30
	v_add_f32_e32 v30, v32, v32
	v_add_co_u32 v25, vcc_lo, v25, 4
	s_add_i32 s59, s59, 1
	v_add_co_ci_u32_e64 v26, null, 0, v26, vcc_lo
	v_xor_b32_e32 v31, 0x80000000, v33
	s_waitcnt vmcnt(0)
	v_sub_f32_e32 v20, v42, v29
	v_add_co_u32 v42, vcc_lo, v27, 4
	v_sub_f32_e32 v29, v43, v20
	v_add_co_ci_u32_e64 v43, null, 0, v28, vcc_lo
	v_add_co_u32 v44, vcc_lo, v23, s7
	v_mul_f32_e32 v29, v33, v29
	v_add_co_ci_u32_e64 v45, null, s31, v24, vcc_lo
	v_fma_f32 v30, v18, v30, -v29
	v_add_nc_u32_e32 v29, s59, v19
	v_fma_f32 v34, v30, -v33, v20
	v_cmp_ge_i32_e32 vcc_lo, v29, v15
	v_mul_f32_e64 v29, v30, -v33
	v_fma_f32 v20, v32, v30, -v18
	v_mov_b32_e32 v18, v32
	global_store_dword v[27:28], v34, off
	global_store_dword v[23:24], v32, off
	v_add_co_u32 v23, s2, v23, 4
	v_mov_b32_e32 v27, v42
	v_add_co_ci_u32_e64 v24, null, 0, v24, s2
	v_mov_b32_e32 v28, v43
	s_or_b32 s58, vcc_lo, s58
	global_store_dword v[44:45], v31, off
	s_andn2_b32 exec_lo, exec_lo, s58
	s_cbranch_execz .LBB6_108
.LBB6_95:                               ;   Parent Loop BB6_7 Depth=1
                                        ;     Parent Loop BB6_68 Depth=2
                                        ; =>    This Inner Loop Header: Depth=3
	global_load_dword v30, v[25:26], off offset:4
	v_mov_b32_e32 v33, 0
	v_mov_b32_e32 v32, 1.0
	s_mov_b32 s60, exec_lo
	s_waitcnt vmcnt(0)
	v_mul_f32_e32 v31, v31, v30
	v_cmpx_neq_f32_e32 0, v31
	s_cbranch_execz .LBB6_105
; %bb.96:                               ;   in Loop: Header=BB6_95 Depth=3
	v_xor_b32_e32 v34, 0x80000000, v31
                                        ; implicit-def: $vgpr33
                                        ; implicit-def: $vgpr32
	s_mov_b32 s2, exec_lo
	v_cmpx_neq_f32_e32 0, v20
	s_xor_b32 s61, exec_lo, s2
	s_cbranch_execz .LBB6_102
; %bb.97:                               ;   in Loop: Header=BB6_95 Depth=3
	s_mov_b32 s62, exec_lo
                                        ; implicit-def: $vgpr33
                                        ; implicit-def: $vgpr32
	v_cmpx_ngt_f32_e64 |v31|, |v20|
	s_xor_b32 s62, exec_lo, s62
	s_cbranch_execz .LBB6_99
; %bb.98:                               ;   in Loop: Header=BB6_95 Depth=3
	v_div_scale_f32 v32, null, v20, v20, -v31
	v_div_scale_f32 v42, vcc_lo, -v31, v20, -v31
	v_rcp_f32_e32 v33, v32
	v_fma_f32 v34, -v32, v33, 1.0
	v_fmac_f32_e32 v33, v34, v33
	v_mul_f32_e32 v34, v42, v33
	v_fma_f32 v43, -v32, v34, v42
	v_fmac_f32_e32 v34, v43, v33
	v_fma_f32 v32, -v32, v34, v42
	v_div_fmas_f32 v32, v32, v33, v34
	v_div_fixup_f32 v33, v32, v20, -v31
	v_fma_f32 v32, v33, v33, 1.0
	v_mul_f32_e32 v34, 0x4f800000, v32
	v_cmp_gt_f32_e32 vcc_lo, 0xf800000, v32
	v_cndmask_b32_e32 v32, v32, v34, vcc_lo
	v_sqrt_f32_e32 v34, v32
	v_add_nc_u32_e32 v42, -1, v34
	v_add_nc_u32_e32 v43, 1, v34
	v_fma_f32 v44, -v42, v34, v32
	v_fma_f32 v45, -v43, v34, v32
	v_cmp_ge_f32_e64 s2, 0, v44
	v_cndmask_b32_e64 v34, v34, v42, s2
	v_cmp_lt_f32_e64 s2, 0, v45
	v_cndmask_b32_e64 v34, v34, v43, s2
	v_mul_f32_e32 v42, 0x37800000, v34
	v_cndmask_b32_e32 v34, v34, v42, vcc_lo
	v_cmp_class_f32_e64 vcc_lo, v32, 0x260
	v_cndmask_b32_e32 v32, v34, v32, vcc_lo
	v_div_scale_f32 v34, null, v32, v32, 1.0
	v_rcp_f32_e32 v42, v34
	v_fma_f32 v43, -v34, v42, 1.0
	v_fmac_f32_e32 v42, v43, v42
	v_div_scale_f32 v43, vcc_lo, 1.0, v32, 1.0
	v_mul_f32_e32 v44, v43, v42
	v_fma_f32 v45, -v34, v44, v43
	v_fmac_f32_e32 v44, v45, v42
	v_fma_f32 v34, -v34, v44, v43
	v_div_fmas_f32 v34, v34, v42, v44
	v_div_fixup_f32 v32, v34, v32, 1.0
	v_mul_f32_e32 v33, v33, v32
.LBB6_99:                               ;   in Loop: Header=BB6_95 Depth=3
	s_andn2_saveexec_b32 s62, s62
	s_cbranch_execz .LBB6_101
; %bb.100:                              ;   in Loop: Header=BB6_95 Depth=3
	v_div_scale_f32 v32, null, v31, v31, -v20
	v_div_scale_f32 v42, vcc_lo, -v20, v31, -v20
	v_rcp_f32_e32 v33, v32
	v_fma_f32 v34, -v32, v33, 1.0
	v_fmac_f32_e32 v33, v34, v33
	v_mul_f32_e32 v34, v42, v33
	v_fma_f32 v43, -v32, v34, v42
	v_fmac_f32_e32 v34, v43, v33
	v_fma_f32 v32, -v32, v34, v42
	v_div_fmas_f32 v32, v32, v33, v34
	v_div_fixup_f32 v32, v32, v31, -v20
	v_fma_f32 v33, v32, v32, 1.0
	v_mul_f32_e32 v34, 0x4f800000, v33
	v_cmp_gt_f32_e32 vcc_lo, 0xf800000, v33
	v_cndmask_b32_e32 v33, v33, v34, vcc_lo
	v_sqrt_f32_e32 v34, v33
	v_add_nc_u32_e32 v42, -1, v34
	v_add_nc_u32_e32 v43, 1, v34
	v_fma_f32 v44, -v42, v34, v33
	v_fma_f32 v45, -v43, v34, v33
	v_cmp_ge_f32_e64 s2, 0, v44
	v_cndmask_b32_e64 v34, v34, v42, s2
	v_cmp_lt_f32_e64 s2, 0, v45
	v_cndmask_b32_e64 v34, v34, v43, s2
	v_mul_f32_e32 v42, 0x37800000, v34
	v_cndmask_b32_e32 v34, v34, v42, vcc_lo
	v_cmp_class_f32_e64 vcc_lo, v33, 0x260
	v_cndmask_b32_e32 v33, v34, v33, vcc_lo
	v_div_scale_f32 v34, null, v33, v33, 1.0
	v_rcp_f32_e32 v42, v34
	v_fma_f32 v43, -v34, v42, 1.0
	v_fmac_f32_e32 v42, v43, v42
	v_div_scale_f32 v43, vcc_lo, 1.0, v33, 1.0
	v_mul_f32_e32 v44, v43, v42
	v_fma_f32 v45, -v34, v44, v43
	v_fmac_f32_e32 v44, v45, v42
	v_fma_f32 v34, -v34, v44, v43
	v_div_fmas_f32 v34, v34, v42, v44
	v_div_fixup_f32 v33, v34, v33, 1.0
	v_mul_f32_e32 v32, v32, v33
.LBB6_101:                              ;   in Loop: Header=BB6_95 Depth=3
	s_or_b32 exec_lo, exec_lo, s62
	v_mul_f32_e32 v31, v31, v33
	v_fma_f32 v34, v20, v32, -v31
.LBB6_102:                              ;   in Loop: Header=BB6_95 Depth=3
	s_andn2_saveexec_b32 s2, s61
; %bb.103:                              ;   in Loop: Header=BB6_95 Depth=3
	v_mov_b32_e32 v32, 0
	v_mov_b32_e32 v33, 1.0
; %bb.104:                              ;   in Loop: Header=BB6_95 Depth=3
	s_or_b32 exec_lo, exec_lo, s2
	v_mov_b32_e32 v20, v34
.LBB6_105:                              ;   in Loop: Header=BB6_95 Depth=3
	s_or_b32 exec_lo, exec_lo, s60
	s_cmp_eq_u32 s59, 0
	s_cbranch_scc1 .LBB6_94
; %bb.106:                              ;   in Loop: Header=BB6_95 Depth=3
	global_store_dword v[25:26], v20, off
	s_branch .LBB6_94
.LBB6_107:                              ;   in Loop: Header=BB6_68 Depth=2
	ds_write2_b32 v35, v19, v15 offset0:1 offset1:4
	s_cbranch_execz .LBB6_80
	s_branch .LBB6_81
.LBB6_108:                              ;   in Loop: Header=BB6_68 Depth=2
	s_or_b32 exec_lo, exec_lo, s58
	ds_write_b32 v35, v29 offset:8
.LBB6_109:                              ;   in Loop: Header=BB6_68 Depth=2
	s_or_b32 exec_lo, exec_lo, s57
	global_load_dword v27, v[16:17], off
.LBB6_110:                              ;   in Loop: Header=BB6_68 Depth=2
	s_or_b32 exec_lo, exec_lo, s56
	s_waitcnt vmcnt(0)
	v_sub_f32_e32 v15, v27, v29
                                        ; implicit-def: $vgpr27
                                        ; implicit-def: $vgpr19
	global_store_dword v[16:17], v15, off
	global_store_dword v[21:22], v20, off offset:-4
                                        ; implicit-def: $vgpr16_vgpr17
                                        ; implicit-def: $vgpr21_vgpr22
                                        ; implicit-def: $vgpr15
.LBB6_111:                              ;   in Loop: Header=BB6_68 Depth=2
	s_andn2_saveexec_b32 s56, s3
	s_cbranch_execz .LBB6_144
; %bb.112:                              ;   in Loop: Header=BB6_68 Depth=2
	v_ashrrev_i32_e32 v20, 31, v19
	s_mov_b32 s3, exec_lo
	v_lshlrev_b64 v[18:19], 2, v[19:20]
	v_add_co_u32 v23, vcc_lo, s10, v18
	v_add_co_ci_u32_e64 v24, null, s33, v19, vcc_lo
	v_add_co_u32 v25, vcc_lo, s18, v18
	v_add_co_ci_u32_e64 v26, null, s19, v19, vcc_lo
	global_load_dword v28, v[23:24], off
	global_load_dword v23, v[25:26], off
                                        ; implicit-def: $vgpr26
	s_waitcnt vmcnt(1)
	v_add_f32_e32 v20, v28, v28
	s_waitcnt vmcnt(0)
	v_sub_f32_e32 v25, v23, v27
	v_and_b32_e32 v24, 0x7fffffff, v20
	v_cmpx_ngt_f32_e64 |v25|, |v20|
	s_xor_b32 s3, exec_lo, s3
	s_cbranch_execz .LBB6_118
; %bb.113:                              ;   in Loop: Header=BB6_68 Depth=2
	v_cmp_nlt_f32_e64 s2, |v25|, |v20|
                                        ; implicit-def: $vgpr26
	s_and_saveexec_b32 s57, s2
	s_xor_b32 s2, exec_lo, s57
	s_cbranch_execz .LBB6_115
; %bb.114:                              ;   in Loop: Header=BB6_68 Depth=2
	v_cvt_f64_f32_e32 v[29:30], v24
                                        ; implicit-def: $vgpr24
	v_mul_f64 v[29:30], v[29:30], s[54:55]
	v_cvt_f32_f64_e32 v26, v[29:30]
.LBB6_115:                              ;   in Loop: Header=BB6_68 Depth=2
	s_andn2_saveexec_b32 s57, s2
	s_cbranch_execz .LBB6_117
; %bb.116:                              ;   in Loop: Header=BB6_68 Depth=2
	v_and_b32_e32 v26, 0x7fffffff, v25
	v_div_scale_f32 v29, null, v24, v24, v26
	v_div_scale_f32 v24, vcc_lo, v26, v24, v26
	v_rcp_f32_e32 v30, v29
	v_fma_f32 v31, -v29, v30, 1.0
	v_fmac_f32_e32 v30, v31, v30
	v_mul_f32_e32 v26, v24, v30
	v_fma_f32 v31, -v29, v26, v24
	v_fmac_f32_e32 v26, v31, v30
	v_fma_f32 v24, -v29, v26, v24
	v_div_fmas_f32 v24, v24, v30, v26
	v_div_fixup_f32 v24, v24, |v20|, |v25|
	v_fma_f32 v24, v24, v24, 1.0
	v_mul_f32_e32 v26, 0x4f800000, v24
	v_cmp_gt_f32_e32 vcc_lo, 0xf800000, v24
	v_cndmask_b32_e32 v24, v24, v26, vcc_lo
	v_sqrt_f32_e32 v26, v24
	v_add_nc_u32_e32 v29, -1, v26
	v_add_nc_u32_e32 v30, 1, v26
	v_fma_f32 v31, -v29, v26, v24
	v_fma_f32 v32, -v30, v26, v24
	v_cmp_ge_f32_e64 s2, 0, v31
	v_cndmask_b32_e64 v26, v26, v29, s2
	v_cmp_lt_f32_e64 s2, 0, v32
	v_cndmask_b32_e64 v26, v26, v30, s2
	v_mul_f32_e32 v29, 0x37800000, v26
	v_cndmask_b32_e32 v26, v26, v29, vcc_lo
	v_cmp_class_f32_e64 vcc_lo, v24, 0x260
	v_cndmask_b32_e32 v24, v26, v24, vcc_lo
	v_mul_f32_e64 v26, |v20|, v24
.LBB6_117:                              ;   in Loop: Header=BB6_68 Depth=2
	s_or_b32 exec_lo, exec_lo, s57
                                        ; implicit-def: $vgpr24
.LBB6_118:                              ;   in Loop: Header=BB6_68 Depth=2
	s_andn2_saveexec_b32 s3, s3
	s_cbranch_execz .LBB6_120
; %bb.119:                              ;   in Loop: Header=BB6_68 Depth=2
	v_and_b32_e32 v26, 0x7fffffff, v25
	v_div_scale_f32 v29, null, v26, v26, v24
	v_div_scale_f32 v24, vcc_lo, v24, v26, v24
	v_rcp_f32_e32 v30, v29
	v_fma_f32 v31, -v29, v30, 1.0
	v_fmac_f32_e32 v30, v31, v30
	v_mul_f32_e32 v26, v24, v30
	v_fma_f32 v31, -v29, v26, v24
	v_fmac_f32_e32 v26, v31, v30
	v_fma_f32 v24, -v29, v26, v24
	v_div_fmas_f32 v24, v24, v30, v26
	v_div_fixup_f32 v24, v24, |v25|, |v20|
	v_fma_f32 v24, v24, v24, 1.0
	v_mul_f32_e32 v26, 0x4f800000, v24
	v_cmp_gt_f32_e32 vcc_lo, 0xf800000, v24
	v_cndmask_b32_e32 v24, v24, v26, vcc_lo
	v_sqrt_f32_e32 v26, v24
	v_add_nc_u32_e32 v29, -1, v26
	v_add_nc_u32_e32 v30, 1, v26
	v_fma_f32 v31, -v29, v26, v24
	v_fma_f32 v32, -v30, v26, v24
	v_cmp_ge_f32_e64 s2, 0, v31
	v_cndmask_b32_e64 v26, v26, v29, s2
	v_cmp_lt_f32_e64 s2, 0, v32
	v_cndmask_b32_e64 v26, v26, v30, s2
	v_mul_f32_e32 v29, 0x37800000, v26
	v_cndmask_b32_e32 v26, v26, v29, vcc_lo
	v_cmp_class_f32_e64 vcc_lo, v24, 0x260
	v_cndmask_b32_e32 v24, v26, v24, vcc_lo
	v_mul_f32_e64 v26, |v25|, v24
.LBB6_120:                              ;   in Loop: Header=BB6_68 Depth=2
	s_or_b32 exec_lo, exec_lo, s3
	v_cmp_gt_f32_e64 vcc_lo, |v23|, |v27|
	v_add_f32_e32 v30, v27, v23
	s_mov_b32 s2, exec_lo
	v_cndmask_b32_e32 v29, v23, v27, vcc_lo
	v_cndmask_b32_e32 v31, v27, v23, vcc_lo
                                        ; implicit-def: $vgpr24
	v_cmpx_ngt_f32_e32 0, v30
	s_xor_b32 s3, exec_lo, s2
	s_cbranch_execz .LBB6_126
; %bb.121:                              ;   in Loop: Header=BB6_68 Depth=2
	s_mov_b32 s2, exec_lo
                                        ; implicit-def: $vgpr24
	v_cmpx_nlt_f32_e32 0, v30
	s_xor_b32 s2, exec_lo, s2
; %bb.122:                              ;   in Loop: Header=BB6_68 Depth=2
	v_mul_f32_e32 v23, 0.5, v26
	v_mul_f32_e32 v24, -0.5, v26
                                        ; implicit-def: $vgpr30
                                        ; implicit-def: $vgpr31
                                        ; implicit-def: $vgpr29
                                        ; implicit-def: $vgpr28
; %bb.123:                              ;   in Loop: Header=BB6_68 Depth=2
	s_andn2_saveexec_b32 s57, s2
	s_cbranch_execz .LBB6_125
; %bb.124:                              ;   in Loop: Header=BB6_68 Depth=2
	v_add_f32_e32 v23, v30, v26
	v_cvt_f64_f32_e32 v[30:31], v31
	v_cvt_f64_f32_e32 v[27:28], v28
	v_mul_f32_e32 v23, 0.5, v23
	v_cvt_f64_f32_e32 v[32:33], v23
	v_div_scale_f64 v[42:43], null, v[32:33], v[32:33], v[30:31]
	v_div_scale_f64 v[44:45], null, v[32:33], v[32:33], v[27:28]
	v_div_scale_f64 v[54:55], vcc_lo, v[30:31], v[32:33], v[30:31]
	v_rcp_f64_e32 v[46:47], v[42:43]
	v_rcp_f64_e32 v[48:49], v[44:45]
	v_fma_f64 v[50:51], -v[42:43], v[46:47], 1.0
	v_fma_f64 v[52:53], -v[44:45], v[48:49], 1.0
	v_fma_f64 v[46:47], v[46:47], v[50:51], v[46:47]
	v_fma_f64 v[48:49], v[48:49], v[52:53], v[48:49]
	v_fma_f64 v[50:51], -v[42:43], v[46:47], 1.0
	v_fma_f64 v[52:53], -v[44:45], v[48:49], 1.0
	v_fma_f64 v[46:47], v[46:47], v[50:51], v[46:47]
	v_div_scale_f64 v[50:51], s2, v[27:28], v[32:33], v[27:28]
	v_fma_f64 v[48:49], v[48:49], v[52:53], v[48:49]
	v_mul_f64 v[52:53], v[54:55], v[46:47]
	v_mul_f64 v[56:57], v[50:51], v[48:49]
	v_fma_f64 v[42:43], -v[42:43], v[52:53], v[54:55]
	v_fma_f64 v[44:45], -v[44:45], v[56:57], v[50:51]
	v_div_fmas_f64 v[42:43], v[42:43], v[46:47], v[52:53]
	s_mov_b32 vcc_lo, s2
	v_div_fmas_f64 v[44:45], v[44:45], v[48:49], v[56:57]
	v_div_fixup_f64 v[30:31], v[42:43], v[32:33], v[30:31]
	v_div_fixup_f64 v[44:45], v[44:45], v[32:33], v[27:28]
	v_cvt_f64_f32_e32 v[32:33], v29
	v_mul_f64 v[27:28], v[44:45], v[27:28]
	v_fma_f64 v[27:28], v[30:31], v[32:33], -v[27:28]
	v_cvt_f32_f64_e32 v24, v[27:28]
.LBB6_125:                              ;   in Loop: Header=BB6_68 Depth=2
	s_or_b32 exec_lo, exec_lo, s57
                                        ; implicit-def: $vgpr30
                                        ; implicit-def: $vgpr31
                                        ; implicit-def: $vgpr29
                                        ; implicit-def: $vgpr28
.LBB6_126:                              ;   in Loop: Header=BB6_68 Depth=2
	s_or_saveexec_b32 s3, s3
	v_mov_b32_e32 v27, 1
	s_xor_b32 exec_lo, exec_lo, s3
	s_cbranch_execz .LBB6_128
; %bb.127:                              ;   in Loop: Header=BB6_68 Depth=2
	v_sub_f32_e32 v23, v30, v26
	v_cvt_f64_f32_e32 v[30:31], v31
	v_cvt_f64_f32_e32 v[27:28], v28
	v_mul_f32_e32 v23, 0.5, v23
	v_cvt_f64_f32_e32 v[32:33], v23
	v_div_scale_f64 v[42:43], null, v[32:33], v[32:33], v[30:31]
	v_div_scale_f64 v[44:45], null, v[32:33], v[32:33], v[27:28]
	v_div_scale_f64 v[54:55], vcc_lo, v[30:31], v[32:33], v[30:31]
	v_rcp_f64_e32 v[46:47], v[42:43]
	v_rcp_f64_e32 v[48:49], v[44:45]
	v_fma_f64 v[50:51], -v[42:43], v[46:47], 1.0
	v_fma_f64 v[52:53], -v[44:45], v[48:49], 1.0
	v_fma_f64 v[46:47], v[46:47], v[50:51], v[46:47]
	v_fma_f64 v[48:49], v[48:49], v[52:53], v[48:49]
	v_fma_f64 v[50:51], -v[42:43], v[46:47], 1.0
	v_fma_f64 v[52:53], -v[44:45], v[48:49], 1.0
	v_fma_f64 v[46:47], v[46:47], v[50:51], v[46:47]
	v_div_scale_f64 v[50:51], s2, v[27:28], v[32:33], v[27:28]
	v_fma_f64 v[48:49], v[48:49], v[52:53], v[48:49]
	v_mul_f64 v[52:53], v[54:55], v[46:47]
	v_mul_f64 v[56:57], v[50:51], v[48:49]
	v_fma_f64 v[42:43], -v[42:43], v[52:53], v[54:55]
	v_fma_f64 v[44:45], -v[44:45], v[56:57], v[50:51]
	v_div_fmas_f64 v[42:43], v[42:43], v[46:47], v[52:53]
	s_mov_b32 vcc_lo, s2
	v_div_fmas_f64 v[44:45], v[44:45], v[48:49], v[56:57]
	v_div_fixup_f64 v[30:31], v[42:43], v[32:33], v[30:31]
	v_div_fixup_f64 v[44:45], v[44:45], v[32:33], v[27:28]
	v_cvt_f64_f32_e32 v[32:33], v29
	v_mul_f64 v[27:28], v[44:45], v[27:28]
	v_fma_f64 v[27:28], v[30:31], v[32:33], -v[27:28]
	v_cvt_f32_f64_e32 v24, v[27:28]
	v_mov_b32_e32 v27, -1
.LBB6_128:                              ;   in Loop: Header=BB6_68 Depth=2
	s_or_b32 exec_lo, exec_lo, s3
	v_cmp_nle_f32_e64 s2, 0, v25
	s_mov_b32 s57, exec_lo
                                        ; implicit-def: $vgpr28
	v_cndmask_b32_e64 v26, v26, -v26, s2
	v_add_f32_e32 v25, v25, v26
                                        ; implicit-def: $vgpr26
	v_cmpx_ngt_f32_e64 |v25|, |v20|
	s_xor_b32 s57, exec_lo, s57
	s_cbranch_execz .LBB6_132
; %bb.129:                              ;   in Loop: Header=BB6_68 Depth=2
	v_mov_b32_e32 v26, 0
	v_mov_b32_e32 v28, 1.0
	s_mov_b32 s58, exec_lo
	v_cmpx_neq_f32_e32 0, v20
	s_cbranch_execz .LBB6_131
; %bb.130:                              ;   in Loop: Header=BB6_68 Depth=2
	v_div_scale_f32 v26, null, v20, v20, -v25
	v_div_scale_f32 v30, vcc_lo, -v25, v20, -v25
	v_rcp_f32_e32 v28, v26
	v_fma_f32 v29, -v26, v28, 1.0
	v_fmac_f32_e32 v28, v29, v28
	v_mul_f32_e32 v29, v30, v28
	v_fma_f32 v31, -v26, v29, v30
	v_fmac_f32_e32 v29, v31, v28
	v_fma_f32 v26, -v26, v29, v30
	v_div_fmas_f32 v26, v26, v28, v29
	v_div_fixup_f32 v20, v26, v20, -v25
	v_fma_f32 v25, v20, v20, 1.0
	v_mul_f32_e32 v26, 0x4f800000, v25
	v_cmp_gt_f32_e32 vcc_lo, 0xf800000, v25
	v_cndmask_b32_e32 v25, v25, v26, vcc_lo
	v_sqrt_f32_e32 v26, v25
	v_add_nc_u32_e32 v28, -1, v26
	v_add_nc_u32_e32 v29, 1, v26
	v_fma_f32 v30, -v28, v26, v25
	v_fma_f32 v31, -v29, v26, v25
	v_cmp_ge_f32_e64 s3, 0, v30
	v_cndmask_b32_e64 v26, v26, v28, s3
	v_cmp_lt_f32_e64 s3, 0, v31
	v_cndmask_b32_e64 v26, v26, v29, s3
	v_mul_f32_e32 v28, 0x37800000, v26
	v_cndmask_b32_e32 v26, v26, v28, vcc_lo
	v_cmp_class_f32_e64 vcc_lo, v25, 0x260
	v_cndmask_b32_e32 v25, v26, v25, vcc_lo
	v_div_scale_f32 v26, null, v25, v25, 1.0
	v_rcp_f32_e32 v28, v26
	v_fma_f32 v29, -v26, v28, 1.0
	v_fmac_f32_e32 v28, v29, v28
	v_div_scale_f32 v29, vcc_lo, 1.0, v25, 1.0
	v_mul_f32_e32 v30, v29, v28
	v_fma_f32 v31, -v26, v30, v29
	v_fmac_f32_e32 v30, v31, v28
	v_fma_f32 v26, -v26, v30, v29
	v_div_fmas_f32 v26, v26, v28, v30
	v_div_fixup_f32 v28, v26, v25, 1.0
	v_mul_f32_e32 v26, v20, v28
.LBB6_131:                              ;   in Loop: Header=BB6_68 Depth=2
	s_or_b32 exec_lo, exec_lo, s58
                                        ; implicit-def: $vgpr25
                                        ; implicit-def: $vgpr20
.LBB6_132:                              ;   in Loop: Header=BB6_68 Depth=2
	s_andn2_saveexec_b32 s57, s57
	s_cbranch_execz .LBB6_134
; %bb.133:                              ;   in Loop: Header=BB6_68 Depth=2
	v_div_scale_f32 v26, null, v25, v25, -v20
	v_div_scale_f32 v30, vcc_lo, -v20, v25, -v20
	v_rcp_f32_e32 v28, v26
	v_fma_f32 v29, -v26, v28, 1.0
	v_fmac_f32_e32 v28, v29, v28
	v_mul_f32_e32 v29, v30, v28
	v_fma_f32 v31, -v26, v29, v30
	v_fmac_f32_e32 v29, v31, v28
	v_fma_f32 v26, -v26, v29, v30
	v_div_fmas_f32 v26, v26, v28, v29
	v_div_fixup_f32 v20, v26, v25, -v20
	v_fma_f32 v25, v20, v20, 1.0
	v_mul_f32_e32 v26, 0x4f800000, v25
	v_cmp_gt_f32_e32 vcc_lo, 0xf800000, v25
	v_cndmask_b32_e32 v25, v25, v26, vcc_lo
	v_sqrt_f32_e32 v26, v25
	v_add_nc_u32_e32 v28, -1, v26
	v_add_nc_u32_e32 v29, 1, v26
	v_fma_f32 v30, -v28, v26, v25
	v_fma_f32 v31, -v29, v26, v25
	v_cmp_ge_f32_e64 s3, 0, v30
	v_cndmask_b32_e64 v26, v26, v28, s3
	v_cmp_lt_f32_e64 s3, 0, v31
	v_cndmask_b32_e64 v26, v26, v29, s3
	v_mul_f32_e32 v28, 0x37800000, v26
	v_cndmask_b32_e32 v26, v26, v28, vcc_lo
	v_cmp_class_f32_e64 vcc_lo, v25, 0x260
	v_cndmask_b32_e32 v25, v26, v25, vcc_lo
	v_div_scale_f32 v26, null, v25, v25, 1.0
	v_rcp_f32_e32 v28, v26
	v_fma_f32 v29, -v26, v28, 1.0
	v_fmac_f32_e32 v28, v29, v28
	v_div_scale_f32 v29, vcc_lo, 1.0, v25, 1.0
	v_mul_f32_e32 v30, v29, v28
	v_fma_f32 v31, -v26, v30, v29
	v_fmac_f32_e32 v30, v31, v28
	v_fma_f32 v26, -v26, v30, v29
	v_div_fmas_f32 v26, v26, v28, v30
	v_div_fixup_f32 v26, v26, v25, 1.0
	v_mul_f32_e32 v28, v20, v26
.LBB6_134:                              ;   in Loop: Header=BB6_68 Depth=2
	s_or_b32 exec_lo, exec_lo, s57
	v_cndmask_b32_e64 v20, 1, -1, s2
	v_add_co_u32 v18, s2, s68, v18
	v_add_co_ci_u32_e64 v19, null, s69, v19, s2
	v_cmp_eq_u32_e32 vcc_lo, v27, v20
	v_add_nc_u32_e32 v15, -2, v15
	v_cndmask_b32_e64 v27, v28, -v26, vcc_lo
	v_cndmask_b32_e32 v28, v26, v28, vcc_lo
	v_add_co_u32 v25, vcc_lo, v18, s42
	v_add_co_ci_u32_e64 v26, null, s43, v19, vcc_lo
	v_add_co_u32 v20, vcc_lo, s10, v21
	v_add_co_ci_u32_e64 v21, null, s33, v22, vcc_lo
	global_store_dword v[18:19], v27, off
	global_store_dword v[25:26], v28, off offset:-4
	global_store_dwordx2 v[16:17], v[23:24], off offset:-4
	global_store_dword v[20:21], v35, off offset:-4
	ds_write_b32 v35, v15
	s_or_b32 exec_lo, exec_lo, s56
                                        ; implicit-def: $vgpr20
.LBB6_135:                              ;   in Loop: Header=BB6_68 Depth=2
	s_andn2_saveexec_b32 s2, s37
.LBB6_136:                              ;   in Loop: Header=BB6_68 Depth=2
	ds_write_b32 v35, v20
.LBB6_137:                              ;   in Loop: Header=BB6_68 Depth=2
	s_or_b32 exec_lo, exec_lo, s2
.LBB6_138:                              ;   in Loop: Header=BB6_68 Depth=2
	s_or_b32 exec_lo, exec_lo, s4
	s_waitcnt lgkmcnt(0)
	s_waitcnt_vscnt null, 0x0
	s_barrier
	buffer_gl0_inv
	ds_read_b64 v[15:16], v35
	s_waitcnt lgkmcnt(0)
	v_readfirstlane_b32 s2, v16
	v_cmp_eq_u32_e32 vcc_lo, s2, v15
	v_mov_b32_e32 v15, s2
	s_cbranch_vccnz .LBB6_67
; %bb.139:                              ;   in Loop: Header=BB6_68 Depth=2
	s_and_saveexec_b32 s4, s1
	s_cbranch_execz .LBB6_66
; %bb.140:                              ;   in Loop: Header=BB6_68 Depth=2
	ds_read_b32 v15, v35 offset:16
	s_ashr_i32 s3, s2, 31
	s_mul_i32 s58, s2, s11
	s_lshl_b64 s[56:57], s[2:3], 2
	v_mov_b32_e32 v17, v0
	s_waitcnt lgkmcnt(0)
	v_readfirstlane_b32 s37, v15
	s_sub_i32 s37, s37, s2
	s_add_u32 s56, s68, s56
	s_addc_u32 s57, s69, s57
	s_ashr_i32 s59, s58, 31
	s_mul_hi_i32 s3, s37, s40
	s_lshl_b64 s[60:61], s[58:59], 2
	s_mul_i32 s2, s37, s40
	s_add_u32 s58, s66, s60
	s_addc_u32 s59, s67, s61
	s_cmp_gt_i32 s37, 0
	v_add_co_u32 v15, vcc_lo, v37, s60
	v_add_co_ci_u32_e64 v16, null, s61, v38, vcc_lo
	s_cselect_b32 s60, -1, 0
	s_lshl_b64 s[2:3], s[2:3], 2
	s_mov_b32 s61, 0
	s_add_u32 s62, s58, s2
	s_addc_u32 s63, s59, s3
	s_branch .LBB6_142
.LBB6_141:                              ;   in Loop: Header=BB6_142 Depth=3
	v_add_nc_u32_e32 v17, s30, v17
	v_add_co_u32 v18, vcc_lo, s62, v18
	v_add_co_ci_u32_e64 v19, null, s63, v19, vcc_lo
	v_cmp_le_i32_e32 vcc_lo, s6, v17
	v_add_co_u32 v15, s2, v15, s44
	v_add_co_ci_u32_e64 v16, null, s45, v16, s2
	s_or_b32 s61, vcc_lo, s61
	s_waitcnt vmcnt(0)
	global_store_dword v[18:19], v22, off
	s_andn2_b32 exec_lo, exec_lo, s61
	s_cbranch_execz .LBB6_66
.LBB6_142:                              ;   Parent Loop BB6_7 Depth=1
                                        ;     Parent Loop BB6_68 Depth=2
                                        ; =>    This Loop Header: Depth=3
                                        ;         Child Loop BB6_143 Depth 4
	v_ashrrev_i32_e32 v18, 31, v17
	s_mov_b64 s[2:3], s[56:57]
	s_mov_b32 s64, s37
	v_lshlrev_b64 v[18:19], 2, v[17:18]
	v_add_co_u32 v20, vcc_lo, s58, v18
	v_add_co_ci_u32_e64 v21, null, s59, v19, vcc_lo
	s_andn2_b32 vcc_lo, exec_lo, s60
	global_load_dword v22, v[20:21], off
	v_mov_b32_e32 v21, v16
	v_mov_b32_e32 v20, v15
	s_cbranch_vccnz .LBB6_141
	.p2align	6
.LBB6_143:                              ;   Parent Loop BB6_7 Depth=1
                                        ;     Parent Loop BB6_68 Depth=2
                                        ;       Parent Loop BB6_142 Depth=3
                                        ; =>      This Inner Loop Header: Depth=4
	v_add_co_u32 v23, vcc_lo, v20, s52
	v_add_co_ci_u32_e64 v24, null, s53, v21, vcc_lo
	s_add_u32 s78, s2, s7
	s_addc_u32 s79, s3, s31
	s_add_i32 s64, s64, -1
	global_load_dword v25, v[23:24], off
	s_clause 0x1
	global_load_dword v26, v35, s[78:79]
	global_load_dword v27, v35, s[2:3]
	s_add_u32 s2, s2, 4
	s_addc_u32 s3, s3, 0
	s_cmp_eq_u32 s64, 0
	s_waitcnt vmcnt(1)
	v_mul_f32_e32 v28, v26, v25
	v_mul_f32_e32 v26, v22, v26
	s_waitcnt vmcnt(0)
	v_fmac_f32_e32 v28, v22, v27
	v_fma_f32 v22, v27, v25, -v26
	global_store_dword v[20:21], v28, off
	v_mov_b32_e32 v20, v23
	v_mov_b32_e32 v21, v24
	s_cbranch_scc0 .LBB6_143
	s_branch .LBB6_141
.LBB6_144:                              ;   in Loop: Header=BB6_68 Depth=2
	s_or_b32 exec_lo, exec_lo, s56
                                        ; implicit-def: $vgpr20
	s_andn2_saveexec_b32 s2, s37
	s_cbranch_execnz .LBB6_136
	s_branch .LBB6_137
.LBB6_145:                              ;   in Loop: Header=BB6_147 Depth=2
	s_or_b32 exec_lo, exec_lo, s37
	s_waitcnt_vscnt null, 0x0
	s_barrier
	buffer_gl0_inv
	ds_read_b32 v23, v35
.LBB6_146:                              ;   in Loop: Header=BB6_147 Depth=2
	ds_read2_b32 v[29:30], v35 offset0:5 offset1:7
	s_waitcnt lgkmcnt(0)
	v_cmp_le_i32_e32 vcc_lo, v23, v29
	v_cmp_gt_i32_e64 s3, s24, v30
	s_and_b32 s3, vcc_lo, s3
	s_andn2_b32 vcc_lo, exec_lo, s3
	s_cbranch_vccnz .LBB6_50
.LBB6_147:                              ;   Parent Loop BB6_7 Depth=1
                                        ; =>  This Loop Header: Depth=2
                                        ;       Child Loop BB6_153 Depth 3
                                        ;       Child Loop BB6_173 Depth 3
	;; [unrolled: 1-line block ×3, first 2 shown]
                                        ;         Child Loop BB6_221 Depth 4
	s_and_saveexec_b32 s37, s0
	s_cbranch_execz .LBB6_216
; %bb.148:                              ;   in Loop: Header=BB6_147 Depth=2
	v_cmp_lt_i32_e32 vcc_lo, v23, v29
	s_mov_b32 s3, 0
	s_cbranch_vccnz .LBB6_150
; %bb.149:                              ;   in Loop: Header=BB6_147 Depth=2
	v_ashrrev_i32_e32 v24, 31, v23
	s_mov_b32 s4, -1
	v_mov_b32_e32 v25, v24
	v_mov_b32_e32 v24, v23
	;; [unrolled: 1-line block ×3, first 2 shown]
	s_cbranch_execz .LBB6_151
	s_branch .LBB6_156
.LBB6_150:                              ;   in Loop: Header=BB6_147 Depth=2
	s_mov_b32 s4, 0
                                        ; implicit-def: $vgpr24_vgpr25
	v_mov_b32_e32 v26, v23
.LBB6_151:                              ;   in Loop: Header=BB6_147 Depth=2
	v_ashrrev_i32_e32 v24, 31, v23
	v_mov_b32_e32 v27, v23
	v_lshlrev_b64 v[19:20], 2, v[23:24]
	v_add_co_u32 v25, vcc_lo, s10, v19
	v_add_co_ci_u32_e64 v26, null, s33, v20, vcc_lo
	v_add_co_u32 v21, vcc_lo, s70, v19
	v_add_co_ci_u32_e64 v22, null, s71, v20, vcc_lo
	s_branch .LBB6_153
	.p2align	6
.LBB6_152:                              ;   in Loop: Header=BB6_153 Depth=3
	v_add_nc_u32_e32 v27, 1, v16
	v_add_co_u32 v25, vcc_lo, v19, 4
	v_add_co_ci_u32_e64 v26, null, 0, v20, vcc_lo
	v_add_co_u32 v21, vcc_lo, v21, 4
	v_add_co_ci_u32_e64 v22, null, 0, v22, vcc_lo
	v_cmp_ge_i32_e64 s4, v27, v29
	s_mov_b32 s3, 0
	s_andn2_b32 vcc_lo, exec_lo, s4
	s_cbranch_vccz .LBB6_155
.LBB6_153:                              ;   Parent Loop BB6_7 Depth=1
                                        ;     Parent Loop BB6_147 Depth=2
                                        ; =>    This Inner Loop Header: Depth=3
	v_mov_b32_e32 v19, v25
	v_mov_b32_e32 v20, v26
	global_load_dwordx2 v[25:26], v[21:22], off
	global_load_dword v16, v[19:20], off
	s_waitcnt vmcnt(1)
	v_mul_f32_e32 v25, v25, v26
	s_waitcnt vmcnt(0)
	v_mul_f32_e32 v16, v16, v16
	v_mul_f32_e64 v25, v36, |v25|
	v_cmp_le_f32_e64 s3, |v16|, v25
	v_mov_b32_e32 v16, v27
	s_and_b32 vcc_lo, exec_lo, s3
	s_cbranch_vccz .LBB6_152
; %bb.154:                              ;   in Loop: Header=BB6_147 Depth=2
	s_mov_b32 s3, -1
                                        ; implicit-def: $vgpr27
                                        ; implicit-def: $vgpr25_vgpr26
                                        ; implicit-def: $vgpr21_vgpr22
.LBB6_155:                              ;   in Loop: Header=BB6_147 Depth=2
	v_mov_b32_e32 v21, v23
	v_mov_b32_e32 v22, v24
	v_mov_b32_e32 v25, v24
	v_mov_b32_e32 v26, v29
	v_mov_b32_e32 v24, v23
	s_xor_b32 s4, s3, -1
	s_mov_b32 s3, -1
.LBB6_156:                              ;   in Loop: Header=BB6_147 Depth=2
	s_and_b32 vcc_lo, exec_lo, s4
	s_cbranch_vccnz .LBB6_185
; %bb.157:                              ;   in Loop: Header=BB6_147 Depth=2
	s_andn2_b32 vcc_lo, exec_lo, s3
	s_cbranch_vccnz .LBB6_159
.LBB6_158:                              ;   in Loop: Header=BB6_147 Depth=2
	v_mov_b32_e32 v25, v22
	v_mov_b32_e32 v24, v21
	;; [unrolled: 1-line block ×3, first 2 shown]
	ds_write2_b32 v35, v16, v23 offset0:1 offset1:4
	global_store_dword v[19:20], v35, off
.LBB6_159:                              ;   in Loop: Header=BB6_147 Depth=2
	v_lshlrev_b64 v[28:29], 2, v[24:25]
	v_add_nc_u32_e32 v27, 1, v23
	s_mov_b32 s3, exec_lo
	v_add_co_u32 v24, vcc_lo, s18, v28
	v_add_co_ci_u32_e64 v25, null, s19, v29, vcc_lo
	global_load_dword v43, v[24:25], off
	s_waitcnt vmcnt(0)
	ds_write_b32 v35, v43 offset:8
	v_cmpx_ne_u32_e64 v26, v23
	s_xor_b32 s64, exec_lo, s3
	s_cbranch_execz .LBB6_213
; %bb.160:                              ;   in Loop: Header=BB6_147 Depth=2
	s_mov_b32 s3, exec_lo
	v_cmpx_ne_u32_e64 v26, v27
	s_xor_b32 s4, exec_lo, s3
	s_cbranch_execz .LBB6_189
; %bb.161:                              ;   in Loop: Header=BB6_147 Depth=2
	v_add_co_u32 v28, vcc_lo, s10, v28
	v_add_co_ci_u32_e64 v29, null, s33, v29, vcc_lo
	v_ashrrev_i32_e32 v27, 31, v26
	v_add_nc_u32_e32 v30, 1, v30
	global_load_dword v42, v[24:25], off offset:4
	global_load_dword v44, v[28:29], off
	s_mov_b32 s65, exec_lo
	v_lshlrev_b64 v[33:34], 2, v[26:27]
	ds_write2_b32 v35, v35, v30 offset0:2 offset1:7
	v_add_co_u32 v31, vcc_lo, s18, v33
	v_add_co_ci_u32_e64 v32, null, s19, v34, vcc_lo
	global_load_dword v45, v[31:32], off
	s_waitcnt vmcnt(2)
	v_sub_f32_e32 v27, v42, v43
	s_waitcnt vmcnt(1)
	v_add_f32_e32 v42, v44, v44
	v_div_scale_f32 v46, null, v42, v42, v27
	v_div_scale_f32 v49, vcc_lo, v27, v42, v27
	v_rcp_f32_e32 v47, v46
	v_fma_f32 v48, -v46, v47, 1.0
	v_fmac_f32_e32 v47, v48, v47
	v_mul_f32_e32 v48, v49, v47
	v_fma_f32 v50, -v46, v48, v49
	v_fmac_f32_e32 v48, v50, v47
	v_fma_f32 v46, -v46, v48, v49
	v_div_fmas_f32 v46, v46, v47, v48
	v_div_fixup_f32 v27, v46, v42, v27
	v_fma_f32 v42, v27, v27, 1.0
	v_mul_f32_e32 v46, 0x4f800000, v42
	v_cmp_gt_f32_e32 vcc_lo, 0xf800000, v42
	v_cndmask_b32_e32 v42, v42, v46, vcc_lo
	v_sqrt_f32_e32 v46, v42
	v_add_nc_u32_e32 v47, -1, v46
	v_add_nc_u32_e32 v48, 1, v46
	v_fma_f32 v49, -v47, v46, v42
	v_fma_f32 v50, -v48, v46, v42
	v_cmp_ge_f32_e64 s3, 0, v49
	v_cndmask_b32_e64 v46, v46, v47, s3
	v_cmp_lt_f32_e64 s3, 0, v50
	v_cndmask_b32_e64 v46, v46, v48, s3
	v_mul_f32_e32 v47, 0x37800000, v46
	v_cndmask_b32_e32 v46, v46, v47, vcc_lo
	v_cmp_class_f32_e64 vcc_lo, v42, 0x260
	v_cndmask_b32_e32 v42, v46, v42, vcc_lo
	v_cmp_nle_f32_e32 vcc_lo, 0, v27
	v_cndmask_b32_e64 v42, |v42|, -|v42|, vcc_lo
	v_add_f32_e32 v27, v27, v42
	v_div_scale_f32 v42, null, v27, v27, v44
	v_div_scale_f32 v48, vcc_lo, v44, v27, v44
	v_rcp_f32_e32 v46, v42
	v_fma_f32 v47, -v42, v46, 1.0
	v_fmac_f32_e32 v46, v47, v46
	v_mul_f32_e32 v47, v48, v46
	v_fma_f32 v49, -v42, v47, v48
	v_fmac_f32_e32 v47, v49, v46
	v_fma_f32 v42, -v42, v47, v48
	v_div_fmas_f32 v42, v42, v46, v47
	s_waitcnt vmcnt(0)
	v_sub_f32_e32 v46, v45, v43
	v_div_fixup_f32 v27, v42, v27, v44
	v_mov_b32_e32 v44, 0
	v_add_f32_e32 v42, v46, v27
	v_cmpx_gt_i32_e64 v26, v23
	s_cbranch_execz .LBB6_188
; %bb.162:                              ;   in Loop: Header=BB6_147 Depth=2
	v_add_co_u32 v43, vcc_lo, s10, v33
	v_add_co_ci_u32_e64 v44, null, s33, v34, vcc_lo
	v_mov_b32_e32 v46, 0
	v_mov_b32_e32 v27, 1.0
	s_mov_b32 s56, exec_lo
	global_load_dword v43, v[43:44], off offset:-4
	s_waitcnt vmcnt(0)
	v_cmpx_neq_f32_e32 0, v43
	s_cbranch_execz .LBB6_170
; %bb.163:                              ;   in Loop: Header=BB6_147 Depth=2
	v_mov_b32_e32 v27, 0
	v_mov_b32_e32 v46, 1.0
	s_mov_b32 s57, exec_lo
	v_cmpx_neq_f32_e32 0, v42
	s_cbranch_execz .LBB6_169
; %bb.164:                              ;   in Loop: Header=BB6_147 Depth=2
	s_mov_b32 s58, exec_lo
                                        ; implicit-def: $vgpr46
                                        ; implicit-def: $vgpr27
	v_cmpx_ngt_f32_e64 |v43|, |v42|
	s_xor_b32 s58, exec_lo, s58
	s_cbranch_execz .LBB6_166
; %bb.165:                              ;   in Loop: Header=BB6_147 Depth=2
	v_div_scale_f32 v27, null, v42, v42, -v43
	v_div_scale_f32 v46, vcc_lo, -v43, v42, -v43
	v_rcp_f32_e32 v30, v27
	v_fma_f32 v44, -v27, v30, 1.0
	v_fmac_f32_e32 v30, v44, v30
	v_mul_f32_e32 v44, v46, v30
	v_fma_f32 v47, -v27, v44, v46
	v_fmac_f32_e32 v44, v47, v30
	v_fma_f32 v27, -v27, v44, v46
	v_div_fmas_f32 v27, v27, v30, v44
	v_div_fixup_f32 v30, v27, v42, -v43
	v_fma_f32 v27, v30, v30, 1.0
	v_mul_f32_e32 v42, 0x4f800000, v27
	v_cmp_gt_f32_e32 vcc_lo, 0xf800000, v27
	v_cndmask_b32_e32 v27, v27, v42, vcc_lo
	v_sqrt_f32_e32 v42, v27
	v_add_nc_u32_e32 v44, -1, v42
	v_add_nc_u32_e32 v46, 1, v42
	v_fma_f32 v47, -v44, v42, v27
	v_fma_f32 v48, -v46, v42, v27
	v_cmp_ge_f32_e64 s3, 0, v47
	v_cndmask_b32_e64 v42, v42, v44, s3
	v_cmp_lt_f32_e64 s3, 0, v48
	v_cndmask_b32_e64 v42, v42, v46, s3
	v_mul_f32_e32 v44, 0x37800000, v42
	v_cndmask_b32_e32 v42, v42, v44, vcc_lo
	v_cmp_class_f32_e64 vcc_lo, v27, 0x260
	v_cndmask_b32_e32 v27, v42, v27, vcc_lo
	v_div_scale_f32 v42, null, v27, v27, 1.0
	v_rcp_f32_e32 v44, v42
	v_fma_f32 v46, -v42, v44, 1.0
	v_fmac_f32_e32 v44, v46, v44
	v_div_scale_f32 v46, vcc_lo, 1.0, v27, 1.0
	v_mul_f32_e32 v47, v46, v44
	v_fma_f32 v48, -v42, v47, v46
	v_fmac_f32_e32 v47, v48, v44
	v_fma_f32 v42, -v42, v47, v46
	v_div_fmas_f32 v42, v42, v44, v47
	v_div_fixup_f32 v27, v42, v27, 1.0
                                        ; implicit-def: $vgpr42
	v_mul_f32_e32 v46, v30, v27
.LBB6_166:                              ;   in Loop: Header=BB6_147 Depth=2
	s_andn2_saveexec_b32 s58, s58
	s_cbranch_execz .LBB6_168
; %bb.167:                              ;   in Loop: Header=BB6_147 Depth=2
	v_div_scale_f32 v27, null, v43, v43, -v42
	v_div_scale_f32 v46, vcc_lo, -v42, v43, -v42
	v_rcp_f32_e32 v30, v27
	v_fma_f32 v44, -v27, v30, 1.0
	v_fmac_f32_e32 v30, v44, v30
	v_mul_f32_e32 v44, v46, v30
	v_fma_f32 v47, -v27, v44, v46
	v_fmac_f32_e32 v44, v47, v30
	v_fma_f32 v27, -v27, v44, v46
	v_div_fmas_f32 v27, v27, v30, v44
	v_div_fixup_f32 v27, v27, v43, -v42
	v_fma_f32 v30, v27, v27, 1.0
	v_mul_f32_e32 v42, 0x4f800000, v30
	v_cmp_gt_f32_e32 vcc_lo, 0xf800000, v30
	v_cndmask_b32_e32 v30, v30, v42, vcc_lo
	v_sqrt_f32_e32 v42, v30
	v_add_nc_u32_e32 v44, -1, v42
	v_add_nc_u32_e32 v46, 1, v42
	v_fma_f32 v47, -v44, v42, v30
	v_fma_f32 v48, -v46, v42, v30
	v_cmp_ge_f32_e64 s3, 0, v47
	v_cndmask_b32_e64 v42, v42, v44, s3
	v_cmp_lt_f32_e64 s3, 0, v48
	v_cndmask_b32_e64 v42, v42, v46, s3
	v_mul_f32_e32 v44, 0x37800000, v42
	v_cndmask_b32_e32 v42, v42, v44, vcc_lo
	v_cmp_class_f32_e64 vcc_lo, v30, 0x260
	v_cndmask_b32_e32 v30, v42, v30, vcc_lo
	v_div_scale_f32 v42, null, v30, v30, 1.0
	v_rcp_f32_e32 v44, v42
	v_fma_f32 v46, -v42, v44, 1.0
	v_fmac_f32_e32 v44, v46, v44
	v_div_scale_f32 v46, vcc_lo, 1.0, v30, 1.0
	v_mul_f32_e32 v47, v46, v44
	v_fma_f32 v48, -v42, v47, v46
	v_fmac_f32_e32 v47, v48, v44
	v_fma_f32 v42, -v42, v47, v46
	v_div_fmas_f32 v42, v42, v44, v47
	v_div_fixup_f32 v46, v42, v30, 1.0
	v_mul_f32_e32 v27, v27, v46
.LBB6_168:                              ;   in Loop: Header=BB6_147 Depth=2
	s_or_b32 exec_lo, exec_lo, s58
.LBB6_169:                              ;   in Loop: Header=BB6_147 Depth=2
	s_or_b32 exec_lo, exec_lo, s57
.LBB6_170:                              ;   in Loop: Header=BB6_147 Depth=2
	s_or_b32 exec_lo, exec_lo, s56
	global_load_dword v30, v[31:32], off offset:-4
	v_add_f32_e32 v44, v27, v27
	v_add_co_u32 v33, vcc_lo, s68, v33
	v_add_co_ci_u32_e64 v34, null, s69, v34, vcc_lo
	s_mov_b32 s78, exec_lo
	v_add_co_u32 v47, vcc_lo, v33, -4
	v_add_co_ci_u32_e64 v48, null, -1, v34, vcc_lo
	v_add_co_u32 v47, s3, v47, s42
	v_add_co_ci_u32_e64 v48, null, s43, v48, s3
	s_waitcnt vmcnt(0)
	v_sub_f32_e32 v42, v30, v45
	v_add_nc_u32_e32 v30, -1, v26
	v_mul_f32_e32 v42, v46, v42
	v_fma_f32 v42, v43, v44, -v42
	v_mul_f32_e64 v44, v42, -v46
	v_fma_f32 v45, v42, -v46, v45
	v_fma_f32 v42, v27, v42, -v43
	ds_write_b32 v35, v44 offset:8
	global_store_dword v[31:32], v45, off
	global_store_dword v[33:34], v27, off offset:-4
	global_store_dword v[47:48], v46, off offset:-4
	v_cmpx_gt_i32_e64 v30, v23
	s_cbranch_execz .LBB6_187
; %bb.171:                              ;   in Loop: Header=BB6_147 Depth=2
	v_ashrrev_i32_e32 v31, 31, v30
	v_xor_b32_e32 v45, 0x80000000, v46
	s_mov_b32 s79, -1
	s_mov_b32 s80, 0
	s_mov_b64 s[56:57], s[50:51]
	v_lshlrev_b64 v[30:31], 2, v[30:31]
	s_mov_b64 s[58:59], s[18:19]
	s_mov_b64 s[60:61], s[48:49]
	;; [unrolled: 1-line block ×3, first 2 shown]
	s_branch .LBB6_173
.LBB6_172:                              ;   in Loop: Header=BB6_173 Depth=3
	v_add_co_u32 v32, vcc_lo, s58, v30
	v_add_co_ci_u32_e64 v33, null, s59, v31, vcc_lo
	v_mul_f32_e32 v34, v27, v34
	v_add_f32_e32 v42, v46, v46
	v_xor_b32_e32 v45, 0x80000000, v43
	global_load_dwordx2 v[47:48], v[32:33], off offset:-4
	s_waitcnt vmcnt(0)
	v_sub_f32_e32 v44, v48, v44
	v_add_co_u32 v48, vcc_lo, s60, v30
	v_add_co_ci_u32_e64 v49, null, s61, v31, vcc_lo
	v_sub_f32_e32 v27, v47, v44
	v_add_co_u32 v50, vcc_lo, s62, v30
	s_add_u32 s62, s62, -4
	v_add_co_ci_u32_e64 v51, null, s63, v31, vcc_lo
	s_addc_u32 s63, s63, -1
	s_add_u32 s60, s60, -4
	v_mul_f32_e32 v47, v43, v27
	s_addc_u32 s61, s61, -1
	s_add_i32 s79, s79, -1
	s_add_u32 s58, s58, -4
	v_add_nc_u32_e32 v52, s79, v26
	v_fma_f32 v42, v34, v42, -v47
	v_mov_b32_e32 v27, v46
	s_addc_u32 s59, s59, -1
	s_add_u32 s56, s56, -4
	v_cmp_le_i32_e32 vcc_lo, v52, v23
	v_fma_f32 v47, v42, -v43, v44
	v_mul_f32_e64 v44, v42, -v43
	v_fma_f32 v42, v46, v42, -v34
	s_addc_u32 s57, s57, -1
	s_or_b32 s80, vcc_lo, s80
	global_store_dword v[32:33], v47, off
	global_store_dword v[48:49], v46, off
	;; [unrolled: 1-line block ×3, first 2 shown]
	s_andn2_b32 exec_lo, exec_lo, s80
	s_cbranch_execz .LBB6_186
.LBB6_173:                              ;   Parent Loop BB6_7 Depth=1
                                        ;     Parent Loop BB6_147 Depth=2
                                        ; =>    This Inner Loop Header: Depth=3
	v_add_co_u32 v32, vcc_lo, s56, v30
	v_add_co_ci_u32_e64 v33, null, s57, v31, vcc_lo
	v_mov_b32_e32 v43, 0
	v_mov_b32_e32 v46, 1.0
	s_mov_b32 s81, exec_lo
	global_load_dword v34, v[32:33], off
	s_waitcnt vmcnt(0)
	v_mul_f32_e32 v45, v45, v34
	v_cmpx_neq_f32_e32 0, v45
	s_cbranch_execz .LBB6_183
; %bb.174:                              ;   in Loop: Header=BB6_173 Depth=3
	v_xor_b32_e32 v47, 0x80000000, v45
                                        ; implicit-def: $vgpr43
                                        ; implicit-def: $vgpr46
	s_mov_b32 s3, exec_lo
	v_cmpx_neq_f32_e32 0, v42
	s_xor_b32 s82, exec_lo, s3
	s_cbranch_execz .LBB6_180
; %bb.175:                              ;   in Loop: Header=BB6_173 Depth=3
	s_mov_b32 s83, exec_lo
                                        ; implicit-def: $vgpr43
                                        ; implicit-def: $vgpr46
	v_cmpx_ngt_f32_e64 |v45|, |v42|
	s_xor_b32 s83, exec_lo, s83
	s_cbranch_execz .LBB6_177
; %bb.176:                              ;   in Loop: Header=BB6_173 Depth=3
	v_div_scale_f32 v43, null, v42, v42, -v45
	v_div_scale_f32 v48, vcc_lo, -v45, v42, -v45
	v_rcp_f32_e32 v46, v43
	v_fma_f32 v47, -v43, v46, 1.0
	v_fmac_f32_e32 v46, v47, v46
	v_mul_f32_e32 v47, v48, v46
	v_fma_f32 v49, -v43, v47, v48
	v_fmac_f32_e32 v47, v49, v46
	v_fma_f32 v43, -v43, v47, v48
	v_div_fmas_f32 v43, v43, v46, v47
	v_div_fixup_f32 v43, v43, v42, -v45
	v_fma_f32 v46, v43, v43, 1.0
	v_mul_f32_e32 v47, 0x4f800000, v46
	v_cmp_gt_f32_e32 vcc_lo, 0xf800000, v46
	v_cndmask_b32_e32 v46, v46, v47, vcc_lo
	v_sqrt_f32_e32 v47, v46
	v_add_nc_u32_e32 v48, -1, v47
	v_add_nc_u32_e32 v49, 1, v47
	v_fma_f32 v50, -v48, v47, v46
	v_fma_f32 v51, -v49, v47, v46
	v_cmp_ge_f32_e64 s3, 0, v50
	v_cndmask_b32_e64 v47, v47, v48, s3
	v_cmp_lt_f32_e64 s3, 0, v51
	v_cndmask_b32_e64 v47, v47, v49, s3
	v_mul_f32_e32 v48, 0x37800000, v47
	v_cndmask_b32_e32 v47, v47, v48, vcc_lo
	v_cmp_class_f32_e64 vcc_lo, v46, 0x260
	v_cndmask_b32_e32 v46, v47, v46, vcc_lo
	v_div_scale_f32 v47, null, v46, v46, 1.0
	v_rcp_f32_e32 v48, v47
	v_fma_f32 v49, -v47, v48, 1.0
	v_fmac_f32_e32 v48, v49, v48
	v_div_scale_f32 v49, vcc_lo, 1.0, v46, 1.0
	v_mul_f32_e32 v50, v49, v48
	v_fma_f32 v51, -v47, v50, v49
	v_fmac_f32_e32 v50, v51, v48
	v_fma_f32 v47, -v47, v50, v49
	v_div_fmas_f32 v47, v47, v48, v50
	v_div_fixup_f32 v46, v47, v46, 1.0
	v_mul_f32_e32 v43, v43, v46
.LBB6_177:                              ;   in Loop: Header=BB6_173 Depth=3
	s_andn2_saveexec_b32 s83, s83
	s_cbranch_execz .LBB6_179
; %bb.178:                              ;   in Loop: Header=BB6_173 Depth=3
	v_div_scale_f32 v43, null, v45, v45, -v42
	v_div_scale_f32 v48, vcc_lo, -v42, v45, -v42
	v_rcp_f32_e32 v46, v43
	v_fma_f32 v47, -v43, v46, 1.0
	v_fmac_f32_e32 v46, v47, v46
	v_mul_f32_e32 v47, v48, v46
	v_fma_f32 v49, -v43, v47, v48
	v_fmac_f32_e32 v47, v49, v46
	v_fma_f32 v43, -v43, v47, v48
	v_div_fmas_f32 v43, v43, v46, v47
	v_div_fixup_f32 v46, v43, v45, -v42
	v_fma_f32 v43, v46, v46, 1.0
	v_mul_f32_e32 v47, 0x4f800000, v43
	v_cmp_gt_f32_e32 vcc_lo, 0xf800000, v43
	v_cndmask_b32_e32 v43, v43, v47, vcc_lo
	v_sqrt_f32_e32 v47, v43
	v_add_nc_u32_e32 v48, -1, v47
	v_add_nc_u32_e32 v49, 1, v47
	v_fma_f32 v50, -v48, v47, v43
	v_fma_f32 v51, -v49, v47, v43
	v_cmp_ge_f32_e64 s3, 0, v50
	v_cndmask_b32_e64 v47, v47, v48, s3
	v_cmp_lt_f32_e64 s3, 0, v51
	v_cndmask_b32_e64 v47, v47, v49, s3
	v_mul_f32_e32 v48, 0x37800000, v47
	v_cndmask_b32_e32 v47, v47, v48, vcc_lo
	v_cmp_class_f32_e64 vcc_lo, v43, 0x260
	v_cndmask_b32_e32 v43, v47, v43, vcc_lo
	v_div_scale_f32 v47, null, v43, v43, 1.0
	v_rcp_f32_e32 v48, v47
	v_fma_f32 v49, -v47, v48, 1.0
	v_fmac_f32_e32 v48, v49, v48
	v_div_scale_f32 v49, vcc_lo, 1.0, v43, 1.0
	v_mul_f32_e32 v50, v49, v48
	v_fma_f32 v51, -v47, v50, v49
	v_fmac_f32_e32 v50, v51, v48
	v_fma_f32 v47, -v47, v50, v49
	v_div_fmas_f32 v47, v47, v48, v50
	v_div_fixup_f32 v43, v47, v43, 1.0
	v_mul_f32_e32 v46, v46, v43
.LBB6_179:                              ;   in Loop: Header=BB6_173 Depth=3
	s_or_b32 exec_lo, exec_lo, s83
	v_mul_f32_e32 v45, v45, v43
	v_fma_f32 v47, v42, v46, -v45
.LBB6_180:                              ;   in Loop: Header=BB6_173 Depth=3
	s_andn2_saveexec_b32 s3, s82
; %bb.181:                              ;   in Loop: Header=BB6_173 Depth=3
	v_mov_b32_e32 v46, 0
	v_mov_b32_e32 v43, 1.0
; %bb.182:                              ;   in Loop: Header=BB6_173 Depth=3
	s_or_b32 exec_lo, exec_lo, s3
	v_mov_b32_e32 v42, v47
.LBB6_183:                              ;   in Loop: Header=BB6_173 Depth=3
	s_or_b32 exec_lo, exec_lo, s81
	s_cmp_eq_u32 s79, 0
	s_cbranch_scc1 .LBB6_172
; %bb.184:                              ;   in Loop: Header=BB6_173 Depth=3
	global_store_dword v[32:33], v42, off offset:4
	s_branch .LBB6_172
.LBB6_185:                              ;   in Loop: Header=BB6_147 Depth=2
	ds_write2_b32 v35, v26, v23 offset0:1 offset1:4
	s_cbranch_execz .LBB6_158
	s_branch .LBB6_159
.LBB6_186:                              ;   in Loop: Header=BB6_147 Depth=2
	s_or_b32 exec_lo, exec_lo, s80
	ds_write_b32 v35, v44 offset:8
.LBB6_187:                              ;   in Loop: Header=BB6_147 Depth=2
	s_or_b32 exec_lo, exec_lo, s78
	global_load_dword v43, v[24:25], off
.LBB6_188:                              ;   in Loop: Header=BB6_147 Depth=2
	s_or_b32 exec_lo, exec_lo, s65
	s_waitcnt vmcnt(0)
	v_sub_f32_e32 v23, v43, v44
                                        ; implicit-def: $vgpr43
	global_store_dword v[24:25], v23, off
	global_store_dword v[28:29], v42, off
                                        ; implicit-def: $vgpr28_vgpr29
                                        ; implicit-def: $vgpr24_vgpr25
                                        ; implicit-def: $vgpr23
.LBB6_189:                              ;   in Loop: Header=BB6_147 Depth=2
	s_andn2_saveexec_b32 s56, s4
	s_cbranch_execz .LBB6_222
; %bb.190:                              ;   in Loop: Header=BB6_147 Depth=2
	v_add_co_u32 v26, vcc_lo, s10, v28
	v_add_co_ci_u32_e64 v27, null, s33, v29, vcc_lo
	s_mov_b32 s4, exec_lo
                                        ; implicit-def: $vgpr34
	global_load_dword v42, v[26:27], off
	global_load_dword v30, v[24:25], off offset:4
	s_waitcnt vmcnt(1)
	v_add_f32_e32 v32, v42, v42
	s_waitcnt vmcnt(0)
	v_sub_f32_e32 v33, v43, v30
	v_and_b32_e32 v31, 0x7fffffff, v32
	v_cmpx_ngt_f32_e64 |v33|, |v32|
	s_xor_b32 s4, exec_lo, s4
	s_cbranch_execz .LBB6_196
; %bb.191:                              ;   in Loop: Header=BB6_147 Depth=2
	v_cmp_nlt_f32_e64 s3, |v33|, |v32|
                                        ; implicit-def: $vgpr34
	s_and_saveexec_b32 s57, s3
	s_xor_b32 s3, exec_lo, s57
	s_cbranch_execz .LBB6_193
; %bb.192:                              ;   in Loop: Header=BB6_147 Depth=2
	v_cvt_f64_f32_e32 v[44:45], v31
                                        ; implicit-def: $vgpr31
	v_mul_f64 v[44:45], v[44:45], s[54:55]
	v_cvt_f32_f64_e32 v34, v[44:45]
.LBB6_193:                              ;   in Loop: Header=BB6_147 Depth=2
	s_andn2_saveexec_b32 s57, s3
	s_cbranch_execz .LBB6_195
; %bb.194:                              ;   in Loop: Header=BB6_147 Depth=2
	v_and_b32_e32 v34, 0x7fffffff, v33
	v_div_scale_f32 v44, null, v31, v31, v34
	v_div_scale_f32 v31, vcc_lo, v34, v31, v34
	v_rcp_f32_e32 v45, v44
	v_fma_f32 v46, -v44, v45, 1.0
	v_fmac_f32_e32 v45, v46, v45
	v_mul_f32_e32 v34, v31, v45
	v_fma_f32 v46, -v44, v34, v31
	v_fmac_f32_e32 v34, v46, v45
	v_fma_f32 v31, -v44, v34, v31
	v_div_fmas_f32 v31, v31, v45, v34
	v_div_fixup_f32 v31, v31, |v32|, |v33|
	v_fma_f32 v31, v31, v31, 1.0
	v_mul_f32_e32 v34, 0x4f800000, v31
	v_cmp_gt_f32_e32 vcc_lo, 0xf800000, v31
	v_cndmask_b32_e32 v31, v31, v34, vcc_lo
	v_sqrt_f32_e32 v34, v31
	v_add_nc_u32_e32 v44, -1, v34
	v_add_nc_u32_e32 v45, 1, v34
	v_fma_f32 v46, -v44, v34, v31
	v_fma_f32 v47, -v45, v34, v31
	v_cmp_ge_f32_e64 s3, 0, v46
	v_cndmask_b32_e64 v34, v34, v44, s3
	v_cmp_lt_f32_e64 s3, 0, v47
	v_cndmask_b32_e64 v34, v34, v45, s3
	v_mul_f32_e32 v44, 0x37800000, v34
	v_cndmask_b32_e32 v34, v34, v44, vcc_lo
	v_cmp_class_f32_e64 vcc_lo, v31, 0x260
	v_cndmask_b32_e32 v31, v34, v31, vcc_lo
	v_mul_f32_e64 v34, |v32|, v31
.LBB6_195:                              ;   in Loop: Header=BB6_147 Depth=2
	s_or_b32 exec_lo, exec_lo, s57
                                        ; implicit-def: $vgpr31
.LBB6_196:                              ;   in Loop: Header=BB6_147 Depth=2
	s_andn2_saveexec_b32 s4, s4
	s_cbranch_execz .LBB6_198
; %bb.197:                              ;   in Loop: Header=BB6_147 Depth=2
	v_and_b32_e32 v34, 0x7fffffff, v33
	v_div_scale_f32 v44, null, v34, v34, v31
	v_div_scale_f32 v31, vcc_lo, v31, v34, v31
	v_rcp_f32_e32 v45, v44
	v_fma_f32 v46, -v44, v45, 1.0
	v_fmac_f32_e32 v45, v46, v45
	v_mul_f32_e32 v34, v31, v45
	v_fma_f32 v46, -v44, v34, v31
	v_fmac_f32_e32 v34, v46, v45
	v_fma_f32 v31, -v44, v34, v31
	v_div_fmas_f32 v31, v31, v45, v34
	v_div_fixup_f32 v31, v31, |v33|, |v32|
	v_fma_f32 v31, v31, v31, 1.0
	v_mul_f32_e32 v34, 0x4f800000, v31
	v_cmp_gt_f32_e32 vcc_lo, 0xf800000, v31
	v_cndmask_b32_e32 v31, v31, v34, vcc_lo
	v_sqrt_f32_e32 v34, v31
	v_add_nc_u32_e32 v44, -1, v34
	v_add_nc_u32_e32 v45, 1, v34
	v_fma_f32 v46, -v44, v34, v31
	v_fma_f32 v47, -v45, v34, v31
	v_cmp_ge_f32_e64 s3, 0, v46
	v_cndmask_b32_e64 v34, v34, v44, s3
	v_cmp_lt_f32_e64 s3, 0, v47
	v_cndmask_b32_e64 v34, v34, v45, s3
	v_mul_f32_e32 v44, 0x37800000, v34
	v_cndmask_b32_e32 v34, v34, v44, vcc_lo
	v_cmp_class_f32_e64 vcc_lo, v31, 0x260
	v_cndmask_b32_e32 v31, v34, v31, vcc_lo
	v_mul_f32_e64 v34, |v33|, v31
.LBB6_198:                              ;   in Loop: Header=BB6_147 Depth=2
	s_or_b32 exec_lo, exec_lo, s4
	v_cmp_gt_f32_e64 vcc_lo, |v43|, |v30|
	v_add_f32_e32 v45, v43, v30
	s_mov_b32 s3, exec_lo
	v_cndmask_b32_e32 v44, v43, v30, vcc_lo
	v_cndmask_b32_e32 v46, v30, v43, vcc_lo
                                        ; implicit-def: $vgpr31
	v_cmpx_ngt_f32_e32 0, v45
	s_xor_b32 s3, exec_lo, s3
	s_cbranch_execz .LBB6_204
; %bb.199:                              ;   in Loop: Header=BB6_147 Depth=2
	s_mov_b32 s4, exec_lo
                                        ; implicit-def: $vgpr31
	v_cmpx_nlt_f32_e32 0, v45
	s_xor_b32 s4, exec_lo, s4
; %bb.200:                              ;   in Loop: Header=BB6_147 Depth=2
	v_mul_f32_e32 v30, 0.5, v34
	v_mul_f32_e32 v31, -0.5, v34
                                        ; implicit-def: $vgpr45
                                        ; implicit-def: $vgpr46
                                        ; implicit-def: $vgpr44
                                        ; implicit-def: $vgpr42
; %bb.201:                              ;   in Loop: Header=BB6_147 Depth=2
	s_andn2_saveexec_b32 s4, s4
	s_cbranch_execz .LBB6_203
; %bb.202:                              ;   in Loop: Header=BB6_147 Depth=2
	v_add_f32_e32 v30, v45, v34
	v_cvt_f64_f32_e32 v[45:46], v46
	v_cvt_f64_f32_e32 v[43:44], v44
	v_mul_f32_e32 v30, 0.5, v30
	v_cvt_f64_f32_e32 v[47:48], v30
	v_div_scale_f64 v[49:50], null, v[47:48], v[47:48], v[45:46]
	v_rcp_f64_e32 v[51:52], v[49:50]
	v_fma_f64 v[53:54], -v[49:50], v[51:52], 1.0
	v_fma_f64 v[51:52], v[51:52], v[53:54], v[51:52]
	v_fma_f64 v[53:54], -v[49:50], v[51:52], 1.0
	v_fma_f64 v[51:52], v[51:52], v[53:54], v[51:52]
	v_div_scale_f64 v[53:54], vcc_lo, v[45:46], v[47:48], v[45:46]
	v_mul_f64 v[55:56], v[53:54], v[51:52]
	v_fma_f64 v[49:50], -v[49:50], v[55:56], v[53:54]
	v_div_fmas_f64 v[49:50], v[49:50], v[51:52], v[55:56]
	v_div_fixup_f64 v[45:46], v[49:50], v[47:48], v[45:46]
	v_cvt_f64_f32_e32 v[49:50], v42
	v_div_scale_f64 v[51:52], null, v[47:48], v[47:48], v[49:50]
	v_rcp_f64_e32 v[53:54], v[51:52]
	v_fma_f64 v[55:56], -v[51:52], v[53:54], 1.0
	v_fma_f64 v[53:54], v[53:54], v[55:56], v[53:54]
	v_fma_f64 v[55:56], -v[51:52], v[53:54], 1.0
	v_fma_f64 v[53:54], v[53:54], v[55:56], v[53:54]
	v_div_scale_f64 v[55:56], vcc_lo, v[49:50], v[47:48], v[49:50]
	v_mul_f64 v[57:58], v[55:56], v[53:54]
	v_fma_f64 v[51:52], -v[51:52], v[57:58], v[55:56]
	v_div_fmas_f64 v[51:52], v[51:52], v[53:54], v[57:58]
	v_div_fixup_f64 v[47:48], v[51:52], v[47:48], v[49:50]
	v_mul_f64 v[47:48], v[47:48], v[49:50]
	v_fma_f64 v[42:43], v[45:46], v[43:44], -v[47:48]
	v_cvt_f32_f64_e32 v31, v[42:43]
.LBB6_203:                              ;   in Loop: Header=BB6_147 Depth=2
	s_or_b32 exec_lo, exec_lo, s4
                                        ; implicit-def: $vgpr45
                                        ; implicit-def: $vgpr46
                                        ; implicit-def: $vgpr44
                                        ; implicit-def: $vgpr42
.LBB6_204:                              ;   in Loop: Header=BB6_147 Depth=2
	s_or_saveexec_b32 s3, s3
	v_mov_b32_e32 v43, 1
	s_xor_b32 exec_lo, exec_lo, s3
	s_cbranch_execz .LBB6_206
; %bb.205:                              ;   in Loop: Header=BB6_147 Depth=2
	v_sub_f32_e32 v30, v45, v34
	v_cvt_f64_f32_e32 v[45:46], v46
	v_cvt_f64_f32_e32 v[43:44], v44
	v_mul_f32_e32 v30, 0.5, v30
	v_cvt_f64_f32_e32 v[47:48], v30
	v_div_scale_f64 v[49:50], null, v[47:48], v[47:48], v[45:46]
	v_rcp_f64_e32 v[51:52], v[49:50]
	v_fma_f64 v[53:54], -v[49:50], v[51:52], 1.0
	v_fma_f64 v[51:52], v[51:52], v[53:54], v[51:52]
	v_fma_f64 v[53:54], -v[49:50], v[51:52], 1.0
	v_fma_f64 v[51:52], v[51:52], v[53:54], v[51:52]
	v_div_scale_f64 v[53:54], vcc_lo, v[45:46], v[47:48], v[45:46]
	v_mul_f64 v[55:56], v[53:54], v[51:52]
	v_fma_f64 v[49:50], -v[49:50], v[55:56], v[53:54]
	v_div_fmas_f64 v[49:50], v[49:50], v[51:52], v[55:56]
	v_div_fixup_f64 v[45:46], v[49:50], v[47:48], v[45:46]
	v_cvt_f64_f32_e32 v[49:50], v42
	v_div_scale_f64 v[51:52], null, v[47:48], v[47:48], v[49:50]
	v_rcp_f64_e32 v[53:54], v[51:52]
	v_fma_f64 v[55:56], -v[51:52], v[53:54], 1.0
	v_fma_f64 v[53:54], v[53:54], v[55:56], v[53:54]
	v_fma_f64 v[55:56], -v[51:52], v[53:54], 1.0
	v_fma_f64 v[53:54], v[53:54], v[55:56], v[53:54]
	v_div_scale_f64 v[55:56], vcc_lo, v[49:50], v[47:48], v[49:50]
	v_mul_f64 v[57:58], v[55:56], v[53:54]
	v_fma_f64 v[51:52], -v[51:52], v[57:58], v[55:56]
	v_div_fmas_f64 v[51:52], v[51:52], v[53:54], v[57:58]
	v_div_fixup_f64 v[47:48], v[51:52], v[47:48], v[49:50]
	v_mul_f64 v[47:48], v[47:48], v[49:50]
	v_fma_f64 v[42:43], v[45:46], v[43:44], -v[47:48]
	v_cvt_f32_f64_e32 v31, v[42:43]
	v_mov_b32_e32 v43, -1
.LBB6_206:                              ;   in Loop: Header=BB6_147 Depth=2
	s_or_b32 exec_lo, exec_lo, s3
	v_cmp_nle_f32_e64 s3, 0, v33
	s_mov_b32 s57, exec_lo
                                        ; implicit-def: $vgpr42
	v_cndmask_b32_e64 v34, v34, -v34, s3
	v_add_f32_e32 v33, v33, v34
                                        ; implicit-def: $vgpr34
	v_cmpx_ngt_f32_e64 |v33|, |v32|
	s_xor_b32 s57, exec_lo, s57
	s_cbranch_execz .LBB6_210
; %bb.207:                              ;   in Loop: Header=BB6_147 Depth=2
	v_mov_b32_e32 v34, 0
	v_mov_b32_e32 v42, 1.0
	s_mov_b32 s58, exec_lo
	v_cmpx_neq_f32_e32 0, v32
	s_cbranch_execz .LBB6_209
; %bb.208:                              ;   in Loop: Header=BB6_147 Depth=2
	v_div_scale_f32 v34, null, v32, v32, -v33
	v_div_scale_f32 v45, vcc_lo, -v33, v32, -v33
	v_rcp_f32_e32 v42, v34
	v_fma_f32 v44, -v34, v42, 1.0
	v_fmac_f32_e32 v42, v44, v42
	v_mul_f32_e32 v44, v45, v42
	v_fma_f32 v46, -v34, v44, v45
	v_fmac_f32_e32 v44, v46, v42
	v_fma_f32 v34, -v34, v44, v45
	v_div_fmas_f32 v34, v34, v42, v44
	v_div_fixup_f32 v32, v34, v32, -v33
	v_fma_f32 v33, v32, v32, 1.0
	v_mul_f32_e32 v34, 0x4f800000, v33
	v_cmp_gt_f32_e32 vcc_lo, 0xf800000, v33
	v_cndmask_b32_e32 v33, v33, v34, vcc_lo
	v_sqrt_f32_e32 v34, v33
	v_add_nc_u32_e32 v42, -1, v34
	v_add_nc_u32_e32 v44, 1, v34
	v_fma_f32 v45, -v42, v34, v33
	v_fma_f32 v46, -v44, v34, v33
	v_cmp_ge_f32_e64 s4, 0, v45
	v_cndmask_b32_e64 v34, v34, v42, s4
	v_cmp_lt_f32_e64 s4, 0, v46
	v_cndmask_b32_e64 v34, v34, v44, s4
	v_mul_f32_e32 v42, 0x37800000, v34
	v_cndmask_b32_e32 v34, v34, v42, vcc_lo
	v_cmp_class_f32_e64 vcc_lo, v33, 0x260
	v_cndmask_b32_e32 v33, v34, v33, vcc_lo
	v_div_scale_f32 v34, null, v33, v33, 1.0
	v_rcp_f32_e32 v42, v34
	v_fma_f32 v44, -v34, v42, 1.0
	v_fmac_f32_e32 v42, v44, v42
	v_div_scale_f32 v44, vcc_lo, 1.0, v33, 1.0
	v_mul_f32_e32 v45, v44, v42
	v_fma_f32 v46, -v34, v45, v44
	v_fmac_f32_e32 v45, v46, v42
	v_fma_f32 v34, -v34, v45, v44
	v_div_fmas_f32 v34, v34, v42, v45
	v_div_fixup_f32 v42, v34, v33, 1.0
	v_mul_f32_e32 v34, v32, v42
.LBB6_209:                              ;   in Loop: Header=BB6_147 Depth=2
	s_or_b32 exec_lo, exec_lo, s58
                                        ; implicit-def: $vgpr33
                                        ; implicit-def: $vgpr32
.LBB6_210:                              ;   in Loop: Header=BB6_147 Depth=2
	s_andn2_saveexec_b32 s57, s57
	s_cbranch_execz .LBB6_212
; %bb.211:                              ;   in Loop: Header=BB6_147 Depth=2
	v_div_scale_f32 v34, null, v33, v33, -v32
	v_div_scale_f32 v45, vcc_lo, -v32, v33, -v32
	v_rcp_f32_e32 v42, v34
	v_fma_f32 v44, -v34, v42, 1.0
	v_fmac_f32_e32 v42, v44, v42
	v_mul_f32_e32 v44, v45, v42
	v_fma_f32 v46, -v34, v44, v45
	v_fmac_f32_e32 v44, v46, v42
	v_fma_f32 v34, -v34, v44, v45
	v_div_fmas_f32 v34, v34, v42, v44
	v_div_fixup_f32 v32, v34, v33, -v32
	v_fma_f32 v33, v32, v32, 1.0
	v_mul_f32_e32 v34, 0x4f800000, v33
	v_cmp_gt_f32_e32 vcc_lo, 0xf800000, v33
	v_cndmask_b32_e32 v33, v33, v34, vcc_lo
	v_sqrt_f32_e32 v34, v33
	v_add_nc_u32_e32 v42, -1, v34
	v_add_nc_u32_e32 v44, 1, v34
	v_fma_f32 v45, -v42, v34, v33
	v_fma_f32 v46, -v44, v34, v33
	v_cmp_ge_f32_e64 s4, 0, v45
	v_cndmask_b32_e64 v34, v34, v42, s4
	v_cmp_lt_f32_e64 s4, 0, v46
	v_cndmask_b32_e64 v34, v34, v44, s4
	v_mul_f32_e32 v42, 0x37800000, v34
	v_cndmask_b32_e32 v34, v34, v42, vcc_lo
	v_cmp_class_f32_e64 vcc_lo, v33, 0x260
	v_cndmask_b32_e32 v33, v34, v33, vcc_lo
	v_div_scale_f32 v34, null, v33, v33, 1.0
	v_rcp_f32_e32 v42, v34
	v_fma_f32 v44, -v34, v42, 1.0
	v_fmac_f32_e32 v42, v44, v42
	v_div_scale_f32 v44, vcc_lo, 1.0, v33, 1.0
	v_mul_f32_e32 v45, v44, v42
	v_fma_f32 v46, -v34, v45, v44
	v_fmac_f32_e32 v45, v46, v42
	v_fma_f32 v34, -v34, v45, v44
	v_div_fmas_f32 v34, v34, v42, v45
	v_div_fixup_f32 v34, v34, v33, 1.0
	v_mul_f32_e32 v42, v32, v34
.LBB6_212:                              ;   in Loop: Header=BB6_147 Depth=2
	s_or_b32 exec_lo, exec_lo, s57
	v_cndmask_b32_e64 v32, 1, -1, s3
	v_add_co_u32 v28, s3, s68, v28
	v_add_co_ci_u32_e64 v29, null, s69, v29, s3
	v_cmp_eq_u32_e32 vcc_lo, v43, v32
	v_add_nc_u32_e32 v23, 2, v23
	v_cndmask_b32_e32 v43, v34, v42, vcc_lo
	v_cndmask_b32_e64 v34, v42, -v34, vcc_lo
	v_add_co_u32 v32, vcc_lo, v28, s42
	v_add_co_ci_u32_e64 v33, null, s43, v29, vcc_lo
	global_store_dword v[28:29], v34, off
	global_store_dword v[32:33], v43, off offset:-4
	global_store_dwordx2 v[24:25], v[30:31], off
	global_store_dword v[26:27], v35, off
	ds_write_b32 v35, v23
	s_or_b32 exec_lo, exec_lo, s56
                                        ; implicit-def: $vgpr27
.LBB6_213:                              ;   in Loop: Header=BB6_147 Depth=2
	s_andn2_saveexec_b32 s3, s64
.LBB6_214:                              ;   in Loop: Header=BB6_147 Depth=2
	ds_write_b32 v35, v27
.LBB6_215:                              ;   in Loop: Header=BB6_147 Depth=2
	s_or_b32 exec_lo, exec_lo, s3
.LBB6_216:                              ;   in Loop: Header=BB6_147 Depth=2
	s_or_b32 exec_lo, exec_lo, s37
	s_waitcnt lgkmcnt(0)
	s_waitcnt_vscnt null, 0x0
	s_barrier
	buffer_gl0_inv
	ds_read_b64 v[23:24], v35
	s_waitcnt lgkmcnt(0)
	v_readfirstlane_b32 s3, v24
	v_cmp_eq_u32_e32 vcc_lo, s3, v23
	v_mov_b32_e32 v23, s3
	s_cbranch_vccnz .LBB6_146
; %bb.217:                              ;   in Loop: Header=BB6_147 Depth=2
	s_and_saveexec_b32 s37, s1
	s_cbranch_execz .LBB6_145
; %bb.218:                              ;   in Loop: Header=BB6_147 Depth=2
	ds_read_b32 v23, v35 offset:16
	v_mov_b32_e32 v27, v0
	s_waitcnt lgkmcnt(0)
	v_readfirstlane_b32 s4, v23
	v_ashrrev_i32_e32 v24, 31, v23
	s_mul_i32 s56, s4, s11
	v_lshlrev_b64 v[23:24], 2, v[23:24]
	s_ashr_i32 s57, s56, 31
	s_lshl_b64 s[62:63], s[56:57], 2
	s_add_u32 s56, s66, s62
	s_addc_u32 s57, s67, s63
	s_sub_i32 s58, s3, s4
	s_mul_hi_i32 s61, s58, s40
	s_mul_i32 s60, s58, s40
	s_lshl_b64 s[60:61], s[60:61], 2
	s_add_u32 s59, s56, s60
	s_addc_u32 s60, s57, s61
	s_cmp_gt_i32 s58, 0
	s_cselect_b32 s61, -1, 0
	s_add_i32 s4, s58, -1
	s_lshl_b64 s[64:65], s[4:5], 2
	s_mul_i32 s3, s53, s4
	s_mul_hi_u32 s78, s52, s4
	s_mul_i32 s4, s52, s4
	v_add_co_u32 v25, vcc_lo, v23, s64
	s_add_i32 s78, s78, s3
	s_add_u32 s3, s4, s62
	v_add_co_ci_u32_e64 v26, null, s65, v24, vcc_lo
	s_addc_u32 s4, s78, s63
	v_add_co_u32 v23, vcc_lo, v37, s3
	v_add_co_ci_u32_e64 v24, null, s4, v38, vcc_lo
	v_add_co_u32 v25, vcc_lo, s68, v25
	v_add_co_ci_u32_e64 v26, null, s69, v26, vcc_lo
	s_mov_b32 s4, 0
	s_branch .LBB6_220
.LBB6_219:                              ;   in Loop: Header=BB6_220 Depth=3
	v_add_nc_u32_e32 v27, s30, v27
	v_add_co_u32 v23, s3, v23, s44
	v_add_co_ci_u32_e64 v24, null, s45, v24, s3
	v_cmp_le_i32_e32 vcc_lo, s6, v27
	s_waitcnt vmcnt(0)
	global_store_dword v[28:29], v34, off
	s_or_b32 s4, vcc_lo, s4
	s_andn2_b32 exec_lo, exec_lo, s4
	s_cbranch_execz .LBB6_145
.LBB6_220:                              ;   Parent Loop BB6_7 Depth=1
                                        ;     Parent Loop BB6_147 Depth=2
                                        ; =>    This Loop Header: Depth=3
                                        ;         Child Loop BB6_221 Depth 4
	v_ashrrev_i32_e32 v28, 31, v27
	v_mov_b32_e32 v33, v26
	v_mov_b32_e32 v32, v25
	s_mov_b32 s3, s58
	v_lshlrev_b64 v[28:29], 2, v[27:28]
	v_add_co_u32 v30, vcc_lo, s59, v28
	v_add_co_ci_u32_e64 v31, null, s60, v29, vcc_lo
	v_add_co_u32 v28, vcc_lo, s56, v28
	v_add_co_ci_u32_e64 v29, null, s57, v29, vcc_lo
	global_load_dword v34, v[30:31], off
	v_mov_b32_e32 v31, v24
	v_mov_b32_e32 v30, v23
	s_andn2_b32 vcc_lo, exec_lo, s61
	s_cbranch_vccnz .LBB6_219
	.p2align	6
.LBB6_221:                              ;   Parent Loop BB6_7 Depth=1
                                        ;     Parent Loop BB6_147 Depth=2
                                        ;       Parent Loop BB6_220 Depth=3
                                        ; =>      This Inner Loop Header: Depth=4
	v_add_co_u32 v42, vcc_lo, v32, s7
	v_add_co_ci_u32_e64 v43, null, s31, v33, vcc_lo
	s_mul_i32 s63, s3, s41
	s_mul_hi_u32 s65, s3, s40
	global_load_dword v44, v[30:31], off
	s_clause 0x1
	global_load_dword v45, v[42:43], off
	global_load_dword v46, v[32:33], off
	s_mul_i32 s62, s3, s40
	v_add_co_u32 v32, vcc_lo, v32, -4
	s_add_i32 s63, s65, s63
	s_waitcnt vmcnt(3)
	v_mov_b32_e32 v47, v34
	v_add_co_ci_u32_e64 v33, null, -1, v33, vcc_lo
	v_add_co_u32 v30, vcc_lo, v30, s74
	s_lshl_b64 s[62:63], s[62:63], 2
	v_add_co_ci_u32_e64 v31, null, s75, v31, vcc_lo
	v_add_co_u32 v42, vcc_lo, v28, s62
	v_add_co_ci_u32_e64 v43, null, s63, v29, vcc_lo
	s_add_i32 s64, s3, -1
	s_cmp_eq_u32 s64, 0
	s_mov_b32 s3, s64
	s_waitcnt vmcnt(0)
	v_mul_f32_e32 v34, v46, v44
	v_mul_f32_e32 v44, v45, v44
	v_fmac_f32_e32 v34, v47, v45
	v_fma_f32 v44, v47, v46, -v44
	global_store_dword v[42:43], v44, off
	s_cbranch_scc0 .LBB6_221
	s_branch .LBB6_219
.LBB6_222:                              ;   in Loop: Header=BB6_147 Depth=2
	s_or_b32 exec_lo, exec_lo, s56
                                        ; implicit-def: $vgpr27
	s_andn2_saveexec_b32 s3, s64
	s_cbranch_execnz .LBB6_214
	s_branch .LBB6_215
.LBB6_223:
	s_mov_b32 s7, exec_lo
	v_cmpx_gt_i32_e64 s36, v0
	s_cbranch_execz .LBB6_229
; %bb.224:
	v_ashrrev_i32_e32 v1, 31, v0
	s_lshl_b64 s[2:3], s[28:29], 2
	v_mov_b32_e32 v3, 0
	s_add_u32 s2, s14, s2
	s_addc_u32 s3, s15, s3
	v_lshlrev_b64 v[1:2], 2, v[0:1]
	s_lshl_b64 s[4:5], s[38:39], 2
	s_mov_b32 s10, 0
	s_add_u32 s1, s20, s4
	s_addc_u32 s4, s21, s5
	s_ashr_i32 s31, s30, 31
	v_add_co_u32 v1, vcc_lo, s1, v1
	v_add_co_ci_u32_e64 v2, null, s4, v2, vcc_lo
	s_lshl_b64 s[4:5], s[30:31], 2
	s_inst_prefetch 0x1
	s_branch .LBB6_226
	.p2align	6
.LBB6_225:                              ;   in Loop: Header=BB6_226 Depth=1
	s_or_b32 exec_lo, exec_lo, s1
	v_add_nc_u32_e32 v0, s30, v0
	v_add_co_u32 v1, s1, v1, s4
	v_add_co_ci_u32_e64 v2, null, s5, v2, s1
	v_cmp_le_i32_e32 vcc_lo, s36, v0
	s_or_b32 s10, vcc_lo, s10
	s_andn2_b32 exec_lo, exec_lo, s10
	s_cbranch_execz .LBB6_229
.LBB6_226:                              ; =>This Inner Loop Header: Depth=1
	global_load_dword v4, v[1:2], off
	s_mov_b32 s1, exec_lo
	s_waitcnt vmcnt(0)
	v_cmpx_neq_f32_e32 0, v4
	s_cbranch_execz .LBB6_225
; %bb.227:                              ;   in Loop: Header=BB6_226 Depth=1
	s_mov_b32 s14, exec_lo
	v_mbcnt_lo_u32_b32 v4, s14, 0
	v_cmp_eq_u32_e32 vcc_lo, 0, v4
	s_and_b32 s15, exec_lo, vcc_lo
	s_mov_b32 exec_lo, s15
	s_cbranch_execz .LBB6_225
; %bb.228:                              ;   in Loop: Header=BB6_226 Depth=1
	s_bcnt1_i32_b32 s14, s14
	v_mov_b32_e32 v4, s14
	global_atomic_add v3, v4, s[2:3]
	s_branch .LBB6_225
.LBB6_229:
	s_inst_prefetch 0x2
	s_or_b32 exec_lo, exec_lo, s7
	s_cmp_lt_i32 s6, 2
	s_cbranch_scc1 .LBB6_242
; %bb.230:
	s_add_u32 s1, s16, s22
	s_addc_u32 s3, s17, s23
	s_add_u32 s2, s1, 4
	s_addc_u32 s3, s3, 0
	s_lshl_b64 s[4:5], s[12:13], 2
	s_lshl_b64 s[12:13], s[34:35], 2
	v_mov_b32_e32 v0, 0
	s_add_u32 s1, s4, s12
	s_addc_u32 s4, s5, s13
	s_add_u32 s1, s8, s1
	s_addc_u32 s7, s9, s4
	s_mov_b32 s4, 1
	s_branch .LBB6_232
.LBB6_231:                              ;   in Loop: Header=BB6_232 Depth=1
	s_add_i32 s4, s4, 1
	s_add_u32 s2, s2, 4
	s_addc_u32 s3, s3, 0
	s_cmp_lg_u32 s4, s6
	s_waitcnt_vscnt null, 0x0
	s_barrier
	buffer_gl0_inv
	s_cbranch_scc0 .LBB6_242
.LBB6_232:                              ; =>This Loop Header: Depth=1
                                        ;     Child Loop BB6_235 Depth 2
                                        ;     Child Loop BB6_241 Depth 2
	s_and_saveexec_b32 s10, s0
	s_cbranch_execz .LBB6_239
; %bb.233:                              ;   in Loop: Header=BB6_232 Depth=1
	s_ashr_i32 s5, s4, 31
	s_mov_b64 s[14:15], s[2:3]
	s_lshl_b64 s[8:9], s[4:5], 2
	s_add_i32 s5, s4, -1
	s_add_u32 s8, s18, s8
	s_addc_u32 s9, s19, s9
	v_mov_b32_e32 v2, s5
	global_load_dword v1, v0, s[8:9] offset:-4
	v_mov_b32_e32 v3, s5
	s_mov_b32 s12, s5
	s_mov_b32 s13, s4
	ds_write_b64 v0, v[2:3]
	s_waitcnt vmcnt(0)
	v_mov_b32_e32 v2, v1
	ds_write_b32 v0, v1 offset:8
	s_branch .LBB6_235
.LBB6_234:                              ;   in Loop: Header=BB6_235 Depth=2
	s_add_i32 s13, s13, 1
	s_add_u32 s14, s14, 4
	s_addc_u32 s15, s15, 0
	s_cmp_eq_u32 s6, s13
	s_cbranch_scc1 .LBB6_237
.LBB6_235:                              ;   Parent Loop BB6_232 Depth=1
                                        ; =>  This Inner Loop Header: Depth=2
	global_load_dword v3, v0, s[14:15]
	s_waitcnt vmcnt(0)
	v_cmp_nlt_f32_e32 vcc_lo, v3, v2
	s_cbranch_vccnz .LBB6_234
; %bb.236:                              ;   in Loop: Header=BB6_235 Depth=2
	v_mov_b32_e32 v4, s13
	v_mov_b32_e32 v2, v3
	s_mov_b32 s12, s13
	ds_write2_b32 v0, v4, v3 offset0:1 offset1:2
	s_branch .LBB6_234
.LBB6_237:                              ;   in Loop: Header=BB6_232 Depth=1
	s_cmp_lg_u32 s12, s5
	s_cbranch_scc0 .LBB6_239
; %bb.238:                              ;   in Loop: Header=BB6_232 Depth=1
	s_ashr_i32 s13, s12, 31
	s_lshl_b64 s[12:13], s[12:13], 2
	s_add_u32 s12, s18, s12
	s_addc_u32 s13, s19, s13
	global_store_dword v0, v1, s[12:13]
	global_store_dword v0, v2, s[8:9] offset:-4
.LBB6_239:                              ;   in Loop: Header=BB6_232 Depth=1
	s_or_b32 exec_lo, exec_lo, s10
	s_waitcnt lgkmcnt(0)
	s_waitcnt_vscnt null, 0x0
	s_barrier
	buffer_gl0_inv
	ds_read_b64 v[1:2], v0
	s_waitcnt lgkmcnt(0)
	v_readfirstlane_b32 s5, v1
	v_readfirstlane_b32 s8, v2
	s_cmp_eq_u32 s8, s5
	s_cbranch_scc1 .LBB6_231
; %bb.240:                              ;   in Loop: Header=BB6_232 Depth=1
	s_mul_i32 s8, s8, s11
	s_mul_i32 s12, s5, s11
	s_ashr_i32 s9, s8, 31
	s_mov_b32 s5, s6
	s_lshl_b64 s[8:9], s[8:9], 2
	s_add_u32 s8, s1, s8
	s_addc_u32 s9, s7, s9
	s_ashr_i32 s13, s12, 31
	s_lshl_b64 s[12:13], s[12:13], 2
	s_add_u32 s12, s1, s12
	s_addc_u32 s13, s7, s13
.LBB6_241:                              ;   Parent Loop BB6_232 Depth=1
                                        ; =>  This Inner Loop Header: Depth=2
	s_clause 0x1
	global_load_dword v1, v0, s[8:9]
	global_load_dword v2, v0, s[12:13]
	s_add_i32 s5, s5, -1
	s_waitcnt vmcnt(1)
	global_store_dword v0, v1, s[12:13]
	s_waitcnt vmcnt(0)
	global_store_dword v0, v2, s[8:9]
	s_add_u32 s8, s8, 4
	s_addc_u32 s9, s9, 0
	s_add_u32 s12, s12, 4
	s_addc_u32 s13, s13, 0
	s_cmp_lg_u32 s5, 0
	s_cbranch_scc1 .LBB6_241
	s_branch .LBB6_231
.LBB6_242:
	s_endpgm
	.section	.rodata,"a",@progbits
	.p2align	6, 0x0
	.amdhsa_kernel _ZN9rocsolver6v33100L12steqr_kernelIffPfEEviPT0_lS4_lT1_iilPiS4_iS3_S3_S3_
		.amdhsa_group_segment_fixed_size 36
		.amdhsa_private_segment_fixed_size 0
		.amdhsa_kernarg_size 352
		.amdhsa_user_sgpr_count 6
		.amdhsa_user_sgpr_private_segment_buffer 1
		.amdhsa_user_sgpr_dispatch_ptr 0
		.amdhsa_user_sgpr_queue_ptr 0
		.amdhsa_user_sgpr_kernarg_segment_ptr 1
		.amdhsa_user_sgpr_dispatch_id 0
		.amdhsa_user_sgpr_flat_scratch_init 0
		.amdhsa_user_sgpr_private_segment_size 0
		.amdhsa_wavefront_size32 1
		.amdhsa_uses_dynamic_stack 0
		.amdhsa_system_sgpr_private_segment_wavefront_offset 0
		.amdhsa_system_sgpr_workgroup_id_x 1
		.amdhsa_system_sgpr_workgroup_id_y 1
		.amdhsa_system_sgpr_workgroup_id_z 0
		.amdhsa_system_sgpr_workgroup_info 0
		.amdhsa_system_vgpr_workitem_id 0
		.amdhsa_next_free_vgpr 59
		.amdhsa_next_free_sgpr 84
		.amdhsa_reserve_vcc 1
		.amdhsa_reserve_flat_scratch 0
		.amdhsa_float_round_mode_32 0
		.amdhsa_float_round_mode_16_64 0
		.amdhsa_float_denorm_mode_32 3
		.amdhsa_float_denorm_mode_16_64 3
		.amdhsa_dx10_clamp 1
		.amdhsa_ieee_mode 1
		.amdhsa_fp16_overflow 0
		.amdhsa_workgroup_processor_mode 1
		.amdhsa_memory_ordered 1
		.amdhsa_forward_progress 1
		.amdhsa_shared_vgpr_count 0
		.amdhsa_exception_fp_ieee_invalid_op 0
		.amdhsa_exception_fp_denorm_src 0
		.amdhsa_exception_fp_ieee_div_zero 0
		.amdhsa_exception_fp_ieee_overflow 0
		.amdhsa_exception_fp_ieee_underflow 0
		.amdhsa_exception_fp_ieee_inexact 0
		.amdhsa_exception_int_div_zero 0
	.end_amdhsa_kernel
	.section	.text._ZN9rocsolver6v33100L12steqr_kernelIffPfEEviPT0_lS4_lT1_iilPiS4_iS3_S3_S3_,"axG",@progbits,_ZN9rocsolver6v33100L12steqr_kernelIffPfEEviPT0_lS4_lT1_iilPiS4_iS3_S3_S3_,comdat
.Lfunc_end6:
	.size	_ZN9rocsolver6v33100L12steqr_kernelIffPfEEviPT0_lS4_lT1_iilPiS4_iS3_S3_S3_, .Lfunc_end6-_ZN9rocsolver6v33100L12steqr_kernelIffPfEEviPT0_lS4_lT1_iilPiS4_iS3_S3_S3_
                                        ; -- End function
	.set _ZN9rocsolver6v33100L12steqr_kernelIffPfEEviPT0_lS4_lT1_iilPiS4_iS3_S3_S3_.num_vgpr, 59
	.set _ZN9rocsolver6v33100L12steqr_kernelIffPfEEviPT0_lS4_lT1_iilPiS4_iS3_S3_S3_.num_agpr, 0
	.set _ZN9rocsolver6v33100L12steqr_kernelIffPfEEviPT0_lS4_lT1_iilPiS4_iS3_S3_S3_.numbered_sgpr, 84
	.set _ZN9rocsolver6v33100L12steqr_kernelIffPfEEviPT0_lS4_lT1_iilPiS4_iS3_S3_S3_.num_named_barrier, 0
	.set _ZN9rocsolver6v33100L12steqr_kernelIffPfEEviPT0_lS4_lT1_iilPiS4_iS3_S3_S3_.private_seg_size, 0
	.set _ZN9rocsolver6v33100L12steqr_kernelIffPfEEviPT0_lS4_lT1_iilPiS4_iS3_S3_S3_.uses_vcc, 1
	.set _ZN9rocsolver6v33100L12steqr_kernelIffPfEEviPT0_lS4_lT1_iilPiS4_iS3_S3_S3_.uses_flat_scratch, 0
	.set _ZN9rocsolver6v33100L12steqr_kernelIffPfEEviPT0_lS4_lT1_iilPiS4_iS3_S3_S3_.has_dyn_sized_stack, 0
	.set _ZN9rocsolver6v33100L12steqr_kernelIffPfEEviPT0_lS4_lT1_iilPiS4_iS3_S3_S3_.has_recursion, 0
	.set _ZN9rocsolver6v33100L12steqr_kernelIffPfEEviPT0_lS4_lT1_iilPiS4_iS3_S3_S3_.has_indirect_call, 0
	.section	.AMDGPU.csdata,"",@progbits
; Kernel info:
; codeLenInByte = 14020
; TotalNumSgprs: 86
; NumVgprs: 59
; ScratchSize: 0
; MemoryBound: 0
; FloatMode: 240
; IeeeMode: 1
; LDSByteSize: 36 bytes/workgroup (compile time only)
; SGPRBlocks: 0
; VGPRBlocks: 7
; NumSGPRsForWavesPerEU: 86
; NumVGPRsForWavesPerEU: 59
; Occupancy: 16
; WaveLimiterHint : 0
; COMPUTE_PGM_RSRC2:SCRATCH_EN: 0
; COMPUTE_PGM_RSRC2:USER_SGPR: 6
; COMPUTE_PGM_RSRC2:TRAP_HANDLER: 0
; COMPUTE_PGM_RSRC2:TGID_X_EN: 1
; COMPUTE_PGM_RSRC2:TGID_Y_EN: 1
; COMPUTE_PGM_RSRC2:TGID_Z_EN: 0
; COMPUTE_PGM_RSRC2:TIDIG_COMP_CNT: 0
	.section	.text._ZN9rocsolver6v33100L16reset_batch_infoIdiiPdEEvT2_lT0_T1_,"axG",@progbits,_ZN9rocsolver6v33100L16reset_batch_infoIdiiPdEEvT2_lT0_T1_,comdat
	.globl	_ZN9rocsolver6v33100L16reset_batch_infoIdiiPdEEvT2_lT0_T1_ ; -- Begin function _ZN9rocsolver6v33100L16reset_batch_infoIdiiPdEEvT2_lT0_T1_
	.p2align	8
	.type	_ZN9rocsolver6v33100L16reset_batch_infoIdiiPdEEvT2_lT0_T1_,@function
_ZN9rocsolver6v33100L16reset_batch_infoIdiiPdEEvT2_lT0_T1_: ; @_ZN9rocsolver6v33100L16reset_batch_infoIdiiPdEEvT2_lT0_T1_
; %bb.0:
	s_clause 0x1
	s_load_dword s2, s[4:5], 0x24
	s_load_dwordx2 s[0:1], s[4:5], 0x10
	s_waitcnt lgkmcnt(0)
	s_and_b32 s2, s2, 0xffff
	v_mad_u64_u32 v[0:1], null, s6, s2, v[0:1]
	v_cmp_gt_i32_e32 vcc_lo, s0, v0
	s_and_saveexec_b32 s0, vcc_lo
	s_cbranch_execz .LBB7_2
; %bb.1:
	s_load_dwordx4 s[8:11], s[4:5], 0x0
	v_cvt_f64_i32_e32 v[2:3], s1
	s_ashr_i32 s0, s7, 31
	v_ashrrev_i32_e32 v1, 31, v0
	v_lshlrev_b64 v[0:1], 3, v[0:1]
	s_waitcnt lgkmcnt(0)
	s_mul_hi_u32 s1, s10, s7
	s_mul_i32 s0, s10, s0
	s_mul_i32 s2, s11, s7
	s_add_i32 s1, s1, s0
	s_mul_i32 s0, s10, s7
	s_add_i32 s1, s1, s2
	s_lshl_b64 s[0:1], s[0:1], 3
	s_add_u32 s0, s8, s0
	s_addc_u32 s1, s9, s1
	v_add_co_u32 v0, vcc_lo, s0, v0
	v_add_co_ci_u32_e64 v1, null, s1, v1, vcc_lo
	global_store_dwordx2 v[0:1], v[2:3], off
.LBB7_2:
	s_endpgm
	.section	.rodata,"a",@progbits
	.p2align	6, 0x0
	.amdhsa_kernel _ZN9rocsolver6v33100L16reset_batch_infoIdiiPdEEvT2_lT0_T1_
		.amdhsa_group_segment_fixed_size 0
		.amdhsa_private_segment_fixed_size 0
		.amdhsa_kernarg_size 280
		.amdhsa_user_sgpr_count 6
		.amdhsa_user_sgpr_private_segment_buffer 1
		.amdhsa_user_sgpr_dispatch_ptr 0
		.amdhsa_user_sgpr_queue_ptr 0
		.amdhsa_user_sgpr_kernarg_segment_ptr 1
		.amdhsa_user_sgpr_dispatch_id 0
		.amdhsa_user_sgpr_flat_scratch_init 0
		.amdhsa_user_sgpr_private_segment_size 0
		.amdhsa_wavefront_size32 1
		.amdhsa_uses_dynamic_stack 0
		.amdhsa_system_sgpr_private_segment_wavefront_offset 0
		.amdhsa_system_sgpr_workgroup_id_x 1
		.amdhsa_system_sgpr_workgroup_id_y 1
		.amdhsa_system_sgpr_workgroup_id_z 0
		.amdhsa_system_sgpr_workgroup_info 0
		.amdhsa_system_vgpr_workitem_id 0
		.amdhsa_next_free_vgpr 4
		.amdhsa_next_free_sgpr 12
		.amdhsa_reserve_vcc 1
		.amdhsa_reserve_flat_scratch 0
		.amdhsa_float_round_mode_32 0
		.amdhsa_float_round_mode_16_64 0
		.amdhsa_float_denorm_mode_32 3
		.amdhsa_float_denorm_mode_16_64 3
		.amdhsa_dx10_clamp 1
		.amdhsa_ieee_mode 1
		.amdhsa_fp16_overflow 0
		.amdhsa_workgroup_processor_mode 1
		.amdhsa_memory_ordered 1
		.amdhsa_forward_progress 1
		.amdhsa_shared_vgpr_count 0
		.amdhsa_exception_fp_ieee_invalid_op 0
		.amdhsa_exception_fp_denorm_src 0
		.amdhsa_exception_fp_ieee_div_zero 0
		.amdhsa_exception_fp_ieee_overflow 0
		.amdhsa_exception_fp_ieee_underflow 0
		.amdhsa_exception_fp_ieee_inexact 0
		.amdhsa_exception_int_div_zero 0
	.end_amdhsa_kernel
	.section	.text._ZN9rocsolver6v33100L16reset_batch_infoIdiiPdEEvT2_lT0_T1_,"axG",@progbits,_ZN9rocsolver6v33100L16reset_batch_infoIdiiPdEEvT2_lT0_T1_,comdat
.Lfunc_end7:
	.size	_ZN9rocsolver6v33100L16reset_batch_infoIdiiPdEEvT2_lT0_T1_, .Lfunc_end7-_ZN9rocsolver6v33100L16reset_batch_infoIdiiPdEEvT2_lT0_T1_
                                        ; -- End function
	.set _ZN9rocsolver6v33100L16reset_batch_infoIdiiPdEEvT2_lT0_T1_.num_vgpr, 4
	.set _ZN9rocsolver6v33100L16reset_batch_infoIdiiPdEEvT2_lT0_T1_.num_agpr, 0
	.set _ZN9rocsolver6v33100L16reset_batch_infoIdiiPdEEvT2_lT0_T1_.numbered_sgpr, 12
	.set _ZN9rocsolver6v33100L16reset_batch_infoIdiiPdEEvT2_lT0_T1_.num_named_barrier, 0
	.set _ZN9rocsolver6v33100L16reset_batch_infoIdiiPdEEvT2_lT0_T1_.private_seg_size, 0
	.set _ZN9rocsolver6v33100L16reset_batch_infoIdiiPdEEvT2_lT0_T1_.uses_vcc, 1
	.set _ZN9rocsolver6v33100L16reset_batch_infoIdiiPdEEvT2_lT0_T1_.uses_flat_scratch, 0
	.set _ZN9rocsolver6v33100L16reset_batch_infoIdiiPdEEvT2_lT0_T1_.has_dyn_sized_stack, 0
	.set _ZN9rocsolver6v33100L16reset_batch_infoIdiiPdEEvT2_lT0_T1_.has_recursion, 0
	.set _ZN9rocsolver6v33100L16reset_batch_infoIdiiPdEEvT2_lT0_T1_.has_indirect_call, 0
	.section	.AMDGPU.csdata,"",@progbits
; Kernel info:
; codeLenInByte = 148
; TotalNumSgprs: 14
; NumVgprs: 4
; ScratchSize: 0
; MemoryBound: 0
; FloatMode: 240
; IeeeMode: 1
; LDSByteSize: 0 bytes/workgroup (compile time only)
; SGPRBlocks: 0
; VGPRBlocks: 0
; NumSGPRsForWavesPerEU: 14
; NumVGPRsForWavesPerEU: 4
; Occupancy: 16
; WaveLimiterHint : 0
; COMPUTE_PGM_RSRC2:SCRATCH_EN: 0
; COMPUTE_PGM_RSRC2:USER_SGPR: 6
; COMPUTE_PGM_RSRC2:TRAP_HANDLER: 0
; COMPUTE_PGM_RSRC2:TGID_X_EN: 1
; COMPUTE_PGM_RSRC2:TGID_Y_EN: 1
; COMPUTE_PGM_RSRC2:TGID_Z_EN: 0
; COMPUTE_PGM_RSRC2:TIDIG_COMP_CNT: 0
	.section	.text._ZN9rocsolver6v33100L10init_identIdPdEEviiT0_iil,"axG",@progbits,_ZN9rocsolver6v33100L10init_identIdPdEEviiT0_iil,comdat
	.globl	_ZN9rocsolver6v33100L10init_identIdPdEEviiT0_iil ; -- Begin function _ZN9rocsolver6v33100L10init_identIdPdEEviiT0_iil
	.p2align	8
	.type	_ZN9rocsolver6v33100L10init_identIdPdEEviiT0_iil,@function
_ZN9rocsolver6v33100L10init_identIdPdEEviiT0_iil: ; @_ZN9rocsolver6v33100L10init_identIdPdEEviiT0_iil
; %bb.0:
	s_clause 0x1
	s_load_dword s2, s[4:5], 0x2c
	s_load_dwordx2 s[0:1], s[4:5], 0x0
	s_waitcnt lgkmcnt(0)
	s_lshr_b32 s3, s2, 16
	s_and_b32 s2, s2, 0xffff
	v_mad_u64_u32 v[4:5], null, s6, s2, v[0:1]
	v_mad_u64_u32 v[1:2], null, s7, s3, v[1:2]
	v_cmp_gt_u32_e32 vcc_lo, s0, v4
	v_cmp_gt_u32_e64 s0, s1, v1
	s_and_b32 s0, vcc_lo, s0
	s_and_saveexec_b32 s1, s0
	s_cbranch_execz .LBB8_6
; %bb.1:
	s_load_dwordx2 s[0:1], s[4:5], 0x10
	s_mov_b32 s2, exec_lo
                                        ; implicit-def: $vgpr0
	v_cmpx_ne_u32_e64 v4, v1
	s_xor_b32 s2, exec_lo, s2
	s_cbranch_execz .LBB8_3
; %bb.2:
	s_waitcnt lgkmcnt(0)
	v_mad_u64_u32 v[0:1], null, v1, s1, v[4:5]
                                        ; implicit-def: $vgpr4_vgpr5
.LBB8_3:
	s_or_saveexec_b32 s2, s2
	v_mov_b32_e32 v2, 0
	v_mov_b32_e32 v3, 0
	s_xor_b32 exec_lo, exec_lo, s2
	s_cbranch_execz .LBB8_5
; %bb.4:
	s_waitcnt lgkmcnt(0)
	v_mad_u64_u32 v[0:1], null, v4, s1, v[4:5]
	v_mov_b32_e32 v2, 0
	v_mov_b32_e32 v3, 0x3ff00000
.LBB8_5:
	s_or_b32 exec_lo, exec_lo, s2
	s_clause 0x1
	s_load_dwordx2 s[2:3], s[4:5], 0x18
	s_load_dwordx2 s[4:5], s[4:5], 0x8
	v_mov_b32_e32 v1, 0
	v_lshlrev_b64 v[0:1], 3, v[0:1]
	s_waitcnt lgkmcnt(0)
	s_mul_i32 s1, s3, s8
	s_mul_hi_u32 s3, s2, s8
	s_mul_i32 s2, s2, s8
	s_add_i32 s3, s3, s1
	s_ashr_i32 s1, s0, 31
	s_lshl_b64 s[2:3], s[2:3], 3
	s_add_u32 s2, s4, s2
	s_addc_u32 s3, s5, s3
	s_lshl_b64 s[0:1], s[0:1], 3
	s_add_u32 s0, s2, s0
	s_addc_u32 s1, s3, s1
	v_add_co_u32 v0, vcc_lo, s0, v0
	v_add_co_ci_u32_e64 v1, null, s1, v1, vcc_lo
	global_store_dwordx2 v[0:1], v[2:3], off
.LBB8_6:
	s_endpgm
	.section	.rodata,"a",@progbits
	.p2align	6, 0x0
	.amdhsa_kernel _ZN9rocsolver6v33100L10init_identIdPdEEviiT0_iil
		.amdhsa_group_segment_fixed_size 0
		.amdhsa_private_segment_fixed_size 0
		.amdhsa_kernarg_size 288
		.amdhsa_user_sgpr_count 6
		.amdhsa_user_sgpr_private_segment_buffer 1
		.amdhsa_user_sgpr_dispatch_ptr 0
		.amdhsa_user_sgpr_queue_ptr 0
		.amdhsa_user_sgpr_kernarg_segment_ptr 1
		.amdhsa_user_sgpr_dispatch_id 0
		.amdhsa_user_sgpr_flat_scratch_init 0
		.amdhsa_user_sgpr_private_segment_size 0
		.amdhsa_wavefront_size32 1
		.amdhsa_uses_dynamic_stack 0
		.amdhsa_system_sgpr_private_segment_wavefront_offset 0
		.amdhsa_system_sgpr_workgroup_id_x 1
		.amdhsa_system_sgpr_workgroup_id_y 1
		.amdhsa_system_sgpr_workgroup_id_z 1
		.amdhsa_system_sgpr_workgroup_info 0
		.amdhsa_system_vgpr_workitem_id 1
		.amdhsa_next_free_vgpr 6
		.amdhsa_next_free_sgpr 9
		.amdhsa_reserve_vcc 1
		.amdhsa_reserve_flat_scratch 0
		.amdhsa_float_round_mode_32 0
		.amdhsa_float_round_mode_16_64 0
		.amdhsa_float_denorm_mode_32 3
		.amdhsa_float_denorm_mode_16_64 3
		.amdhsa_dx10_clamp 1
		.amdhsa_ieee_mode 1
		.amdhsa_fp16_overflow 0
		.amdhsa_workgroup_processor_mode 1
		.amdhsa_memory_ordered 1
		.amdhsa_forward_progress 1
		.amdhsa_shared_vgpr_count 0
		.amdhsa_exception_fp_ieee_invalid_op 0
		.amdhsa_exception_fp_denorm_src 0
		.amdhsa_exception_fp_ieee_div_zero 0
		.amdhsa_exception_fp_ieee_overflow 0
		.amdhsa_exception_fp_ieee_underflow 0
		.amdhsa_exception_fp_ieee_inexact 0
		.amdhsa_exception_int_div_zero 0
	.end_amdhsa_kernel
	.section	.text._ZN9rocsolver6v33100L10init_identIdPdEEviiT0_iil,"axG",@progbits,_ZN9rocsolver6v33100L10init_identIdPdEEviiT0_iil,comdat
.Lfunc_end8:
	.size	_ZN9rocsolver6v33100L10init_identIdPdEEviiT0_iil, .Lfunc_end8-_ZN9rocsolver6v33100L10init_identIdPdEEviiT0_iil
                                        ; -- End function
	.set _ZN9rocsolver6v33100L10init_identIdPdEEviiT0_iil.num_vgpr, 6
	.set _ZN9rocsolver6v33100L10init_identIdPdEEviiT0_iil.num_agpr, 0
	.set _ZN9rocsolver6v33100L10init_identIdPdEEviiT0_iil.numbered_sgpr, 9
	.set _ZN9rocsolver6v33100L10init_identIdPdEEviiT0_iil.num_named_barrier, 0
	.set _ZN9rocsolver6v33100L10init_identIdPdEEviiT0_iil.private_seg_size, 0
	.set _ZN9rocsolver6v33100L10init_identIdPdEEviiT0_iil.uses_vcc, 1
	.set _ZN9rocsolver6v33100L10init_identIdPdEEviiT0_iil.uses_flat_scratch, 0
	.set _ZN9rocsolver6v33100L10init_identIdPdEEviiT0_iil.has_dyn_sized_stack, 0
	.set _ZN9rocsolver6v33100L10init_identIdPdEEviiT0_iil.has_recursion, 0
	.set _ZN9rocsolver6v33100L10init_identIdPdEEviiT0_iil.has_indirect_call, 0
	.section	.AMDGPU.csdata,"",@progbits
; Kernel info:
; codeLenInByte = 272
; TotalNumSgprs: 11
; NumVgprs: 6
; ScratchSize: 0
; MemoryBound: 0
; FloatMode: 240
; IeeeMode: 1
; LDSByteSize: 0 bytes/workgroup (compile time only)
; SGPRBlocks: 0
; VGPRBlocks: 0
; NumSGPRsForWavesPerEU: 11
; NumVGPRsForWavesPerEU: 6
; Occupancy: 16
; WaveLimiterHint : 0
; COMPUTE_PGM_RSRC2:SCRATCH_EN: 0
; COMPUTE_PGM_RSRC2:USER_SGPR: 6
; COMPUTE_PGM_RSRC2:TRAP_HANDLER: 0
; COMPUTE_PGM_RSRC2:TGID_X_EN: 1
; COMPUTE_PGM_RSRC2:TGID_Y_EN: 1
; COMPUTE_PGM_RSRC2:TGID_Z_EN: 1
; COMPUTE_PGM_RSRC2:TIDIG_COMP_CNT: 1
	.section	.text._ZN9rocsolver6v33100L12sterf_kernelIdEEviPT_lS3_lPiS4_iS2_S2_S2_,"axG",@progbits,_ZN9rocsolver6v33100L12sterf_kernelIdEEviPT_lS3_lPiS4_iS2_S2_S2_,comdat
	.globl	_ZN9rocsolver6v33100L12sterf_kernelIdEEviPT_lS3_lPiS4_iS2_S2_S2_ ; -- Begin function _ZN9rocsolver6v33100L12sterf_kernelIdEEviPT_lS3_lPiS4_iS2_S2_S2_
	.p2align	8
	.type	_ZN9rocsolver6v33100L12sterf_kernelIdEEviPT_lS3_lPiS4_iS2_S2_S2_,@function
_ZN9rocsolver6v33100L12sterf_kernelIdEEviPT_lS3_lPiS4_iS2_S2_S2_: ; @_ZN9rocsolver6v33100L12sterf_kernelIdEEviPT_lS3_lPiS4_iS2_S2_S2_
; %bb.0:
	s_clause 0x2
	s_load_dwordx8 s[8:15], s[4:5], 0x8
	s_load_dword s33, s[4:5], 0x0
	s_load_dword s52, s[4:5], 0x38
	s_ashr_i32 s7, s6, 31
	s_waitcnt lgkmcnt(0)
	s_mul_hi_u32 s1, s10, s6
	s_mul_i32 s2, s10, s7
	s_mul_i32 s3, s11, s6
	s_add_i32 s1, s1, s2
	s_mul_i32 s0, s10, s6
	s_add_i32 s1, s1, s3
	s_mul_hi_u32 s2, s14, s6
	s_lshl_b64 s[10:11], s[0:1], 3
	s_mul_i32 s3, s14, s7
	s_add_u32 s50, s8, s10
	s_mul_i32 s1, s15, s6
	s_addc_u32 s51, s9, s11
	s_add_i32 s2, s2, s3
	s_mul_i32 s0, s14, s6
	s_add_i32 s1, s2, s1
	s_lshl_b64 s[0:1], s[0:1], 3
	s_add_u32 s14, s12, s0
	s_addc_u32 s15, s13, s1
	s_min_i32 s2, s33, s52
	s_cmp_lt_i32 s2, 1
	s_cbranch_scc1 .LBB9_148
; %bb.1:
	s_clause 0x1
	s_load_dwordx4 s[16:19], s[4:5], 0x40
	s_load_dwordx2 s[20:21], s[4:5], 0x50
	s_add_i32 s53, s33, -1
	s_add_u32 s54, s12, s0
	s_addc_u32 s55, s13, s1
	s_add_u32 s56, s54, -8
	s_addc_u32 s57, s55, -1
	s_add_u32 s58, s8, s10
	s_addc_u32 s59, s9, s11
	s_add_u32 s60, s58, 8
	v_mov_b32_e32 v2, 0
	s_addc_u32 s61, s59, 0
	s_add_u32 s62, s54, 8
	s_mov_b32 s12, 0x667f3bcd
	s_addc_u32 s63, s55, 0
	s_mov_b32 s64, 0
	s_mov_b32 s13, 0x3ff6a09e
	;; [unrolled: 1-line block ×4, first 2 shown]
	s_waitcnt lgkmcnt(0)
	v_mul_f64 v[0:1], s[16:17], s[16:17]
	s_branch .LBB9_3
.LBB9_2:                                ;   in Loop: Header=BB9_3 Depth=1
	s_andn2_b32 vcc_lo, exec_lo, s0
	s_cbranch_vccz .LBB9_20
.LBB9_3:                                ; =>This Loop Header: Depth=1
                                        ;     Child Loop BB9_7 Depth 2
                                        ;     Child Loop BB9_14 Depth 2
	;; [unrolled: 1-line block ×6, first 2 shown]
                                        ;       Child Loop BB9_56 Depth 3
                                        ;       Child Loop BB9_68 Depth 3
                                        ;     Child Loop BB9_102 Depth 2
                                        ;       Child Loop BB9_104 Depth 3
                                        ;       Child Loop BB9_117 Depth 3
                                        ;     Child Loop BB9_46 Depth 2
                                        ;     Child Loop BB9_50 Depth 2
	s_mov_b32 s22, s23
	s_cmp_lt_i32 s23, 1
	s_cbranch_scc1 .LBB9_5
; %bb.4:                                ;   in Loop: Header=BB9_3 Depth=1
	s_mov_b32 s23, s64
	v_mov_b32_e32 v3, v2
	s_lshl_b64 s[0:1], s[22:23], 3
	s_add_u32 s0, s14, s0
	s_addc_u32 s1, s15, s1
	global_store_dwordx2 v2, v[2:3], s[0:1] offset:-8
.LBB9_5:                                ;   in Loop: Header=BB9_3 Depth=1
	s_ashr_i32 s23, s22, 31
	s_mov_b32 s24, s22
	s_lshl_b64 s[26:27], s[22:23], 3
	s_add_u32 s0, s56, s26
	s_addc_u32 s1, s57, s27
	s_add_u32 s2, s60, s26
	s_addc_u32 s3, s61, s27
	s_mov_b32 s25, -1
	s_cmp_ge_i32 s24, s53
	s_mov_b32 s28, -1
                                        ; implicit-def: $sgpr23
	s_cbranch_scc1 .LBB9_7
.LBB9_6:                                ;   in Loop: Header=BB9_3 Depth=1
	s_clause 0x1
	global_load_dwordx4 v[3:6], v2, s[2:3] offset:-8
	global_load_dwordx2 v[7:8], v2, s[0:1] offset:8
	s_add_u32 s30, s0, 8
	s_addc_u32 s31, s1, 0
	s_waitcnt vmcnt(1)
	v_cmp_gt_f64_e64 s23, 0x10000000, |v[3:4]|
	v_cmp_gt_f64_e64 s25, 0x10000000, |v[5:6]|
	s_and_b32 s0, s23, exec_lo
	s_cselect_b32 s0, 0x100, 0
	s_cselect_b32 s1, 0xffffff80, 0
	s_add_i32 s23, s24, 1
	s_and_b32 s25, s25, exec_lo
	v_ldexp_f64 v[3:4], |v[3:4]|, s0
	s_cselect_b32 s0, 0x100, 0
	s_mov_b32 s25, 0
	v_ldexp_f64 v[5:6], |v[5:6]|, s0
	s_cselect_b32 s0, 0xffffff80, 0
	s_add_u32 s2, s2, 8
	s_addc_u32 s3, s3, 0
	v_rsq_f64_e32 v[9:10], v[3:4]
	v_cmp_class_f64_e64 vcc_lo, v[3:4], 0x260
	v_rsq_f64_e32 v[11:12], v[5:6]
	v_mul_f64 v[13:14], v[3:4], v[9:10]
	v_mul_f64 v[9:10], v[9:10], 0.5
	v_mul_f64 v[15:16], v[5:6], v[11:12]
	v_mul_f64 v[11:12], v[11:12], 0.5
	v_fma_f64 v[17:18], -v[9:10], v[13:14], 0.5
	v_fma_f64 v[19:20], -v[11:12], v[15:16], 0.5
	v_fma_f64 v[13:14], v[13:14], v[17:18], v[13:14]
	v_fma_f64 v[9:10], v[9:10], v[17:18], v[9:10]
	;; [unrolled: 1-line block ×4, first 2 shown]
	v_fma_f64 v[17:18], -v[13:14], v[13:14], v[3:4]
	v_fma_f64 v[19:20], -v[15:16], v[15:16], v[5:6]
	v_fma_f64 v[13:14], v[17:18], v[9:10], v[13:14]
	v_fma_f64 v[15:16], v[19:20], v[11:12], v[15:16]
	v_fma_f64 v[17:18], -v[13:14], v[13:14], v[3:4]
	v_fma_f64 v[19:20], -v[15:16], v[15:16], v[5:6]
	v_fma_f64 v[9:10], v[17:18], v[9:10], v[13:14]
	v_fma_f64 v[11:12], v[19:20], v[11:12], v[15:16]
	v_ldexp_f64 v[9:10], v[9:10], s1
	v_ldexp_f64 v[11:12], v[11:12], s0
	v_cmp_class_f64_e64 s0, v[5:6], 0x260
	v_cndmask_b32_e32 v4, v10, v4, vcc_lo
	v_cndmask_b32_e32 v3, v9, v3, vcc_lo
	v_cndmask_b32_e64 v6, v12, v6, s0
	v_cndmask_b32_e64 v5, v11, v5, s0
	s_mov_b64 s[0:1], s[30:31]
	v_mul_f64 v[3:4], v[3:4], v[5:6]
	v_mul_f64 v[3:4], s[16:17], v[3:4]
	s_waitcnt vmcnt(0)
	v_cmp_le_f64_e64 s28, |v[7:8]|, v[3:4]
.LBB9_7:                                ;   Parent Loop BB9_3 Depth=1
                                        ; =>  This Inner Loop Header: Depth=2
	s_andn2_b32 vcc_lo, exec_lo, s28
	s_cbranch_vccz .LBB9_9
; %bb.8:                                ;   in Loop: Header=BB9_7 Depth=2
	s_mov_b32 s24, s23
	s_mov_b32 s25, -1
	s_cmp_ge_i32 s24, s53
	s_mov_b32 s28, -1
                                        ; implicit-def: $sgpr23
	s_cbranch_scc0 .LBB9_6
	s_branch .LBB9_7
.LBB9_9:                                ;   in Loop: Header=BB9_3 Depth=1
	s_andn2_b32 vcc_lo, exec_lo, s25
	s_mov_b32 s2, -1
	s_cbranch_vccnz .LBB9_16
; %bb.10:                               ;   in Loop: Header=BB9_3 Depth=1
	s_andn2_b32 vcc_lo, exec_lo, s2
	s_cbranch_vccz .LBB9_17
.LBB9_11:                               ;   in Loop: Header=BB9_3 Depth=1
	s_cmp_lg_u32 s24, s22
	s_mov_b32 s30, -1
	s_cbranch_scc0 .LBB9_18
.LBB9_12:                               ;   in Loop: Header=BB9_3 Depth=1
	s_ashr_i32 s25, s24, 31
	s_lshl_b64 s[0:1], s[24:25], 3
	s_add_u32 s28, s50, s0
	s_addc_u32 s29, s51, s1
	s_cmp_lt_i32 s22, s24
	global_load_dwordx2 v[6:7], v2, s[28:29]
	s_cselect_b32 s25, -1, 0
	s_cmp_ge_i32 s22, s24
	s_waitcnt vmcnt(0)
	v_and_b32_e32 v5, 0x7fffffff, v7
	v_mov_b32_e32 v4, v6
	s_cbranch_scc1 .LBB9_15
; %bb.13:                               ;   in Loop: Header=BB9_3 Depth=1
	s_add_u32 s0, s58, s26
	s_addc_u32 s1, s59, s27
	s_add_u32 s2, s54, s26
	s_addc_u32 s3, s55, s27
	s_mov_b32 s31, s22
	.p2align	6
.LBB9_14:                               ;   Parent Loop BB9_3 Depth=1
                                        ; =>  This Inner Loop Header: Depth=2
	s_clause 0x1
	global_load_dwordx2 v[8:9], v2, s[2:3]
	global_load_dwordx2 v[10:11], v2, s[0:1]
	v_max_f64 v[3:4], v[4:5], v[4:5]
	s_add_i32 s31, s31, 1
	s_add_u32 s0, s0, 8
	s_addc_u32 s1, s1, 0
	s_add_u32 s2, s2, 8
	s_addc_u32 s3, s3, 0
	s_cmp_lt_i32 s31, s24
	s_waitcnt vmcnt(1)
	v_max_f64 v[8:9], |v[8:9]|, |v[8:9]|
	s_waitcnt vmcnt(0)
	v_max_f64 v[10:11], |v[10:11]|, |v[10:11]|
	v_max_f64 v[8:9], v[10:11], v[8:9]
	v_max_f64 v[4:5], v[3:4], v[8:9]
	s_cbranch_scc1 .LBB9_14
.LBB9_15:                               ;   in Loop: Header=BB9_3 Depth=1
	v_cmp_eq_f64_e64 s0, 0, v[4:5]
	s_and_b32 vcc_lo, exec_lo, s0
	s_mov_b32 s0, -1
	s_cbranch_vccz .LBB9_2
	s_branch .LBB9_19
.LBB9_16:                               ;   in Loop: Header=BB9_3 Depth=1
	v_mov_b32_e32 v3, v2
	global_store_dwordx2 v2, v[2:3], s[0:1]
	s_cbranch_execnz .LBB9_11
.LBB9_17:                               ;   in Loop: Header=BB9_3 Depth=1
	s_max_i32 s24, s22, s53
	s_add_i32 s23, s24, 1
	s_cmp_lg_u32 s24, s22
	s_mov_b32 s30, -1
	s_cbranch_scc1 .LBB9_12
.LBB9_18:                               ;   in Loop: Header=BB9_3 Depth=1
                                        ; implicit-def: $sgpr28_sgpr29
                                        ; implicit-def: $vgpr6_vgpr7
                                        ; implicit-def: $sgpr25
                                        ; implicit-def: $vgpr4_vgpr5
	s_mov_b32 s0, -1
	s_cbranch_execz .LBB9_2
.LBB9_19:                               ;   in Loop: Header=BB9_3 Depth=1
	s_cmp_ge_i32 s23, s33
	s_mov_b32 s30, 0
	s_cselect_b32 s0, -1, 0
	s_branch .LBB9_2
.LBB9_20:                               ;   in Loop: Header=BB9_3 Depth=1
	s_and_b32 vcc_lo, exec_lo, s30
	s_mov_b32 s0, -1
                                        ; implicit-def: $sgpr66
	s_cbranch_vccz .LBB9_52
; %bb.21:                               ;   in Loop: Header=BB9_3 Depth=1
	v_cmp_nlt_f64_e32 vcc_lo, s[20:21], v[4:5]
	s_cbranch_vccz .LBB9_27
; %bb.22:                               ;   in Loop: Header=BB9_3 Depth=1
	v_cmp_gt_f64_e32 vcc_lo, s[18:19], v[4:5]
	s_cbranch_vccz .LBB9_28
; %bb.23:                               ;   in Loop: Header=BB9_3 Depth=1
	v_div_scale_f64 v[8:9], null, s[18:19], s[18:19], v[4:5]
	v_div_scale_f64 v[14:15], vcc_lo, v[4:5], s[18:19], v[4:5]
	s_mov_b32 s0, 0
	v_rcp_f64_e32 v[10:11], v[8:9]
	v_fma_f64 v[12:13], -v[8:9], v[10:11], 1.0
	v_fma_f64 v[10:11], v[10:11], v[12:13], v[10:11]
	v_fma_f64 v[12:13], -v[8:9], v[10:11], 1.0
	v_fma_f64 v[10:11], v[10:11], v[12:13], v[10:11]
	v_mul_f64 v[12:13], v[14:15], v[10:11]
	v_fma_f64 v[8:9], -v[8:9], v[12:13], v[14:15]
	v_div_fmas_f64 v[8:9], v[8:9], v[10:11], v[12:13]
	s_and_b32 vcc_lo, exec_lo, s25
	v_div_fixup_f64 v[8:9], v[8:9], s[18:19], v[4:5]
	s_waitcnt vmcnt(0)
	v_mul_f64 v[10:11], v[6:7], v[8:9]
	global_store_dwordx2 v2, v[10:11], s[28:29]
	s_cbranch_vccz .LBB9_28
; %bb.24:                               ;   in Loop: Header=BB9_3 Depth=1
	s_add_u32 s0, s58, s26
	s_addc_u32 s1, s59, s27
	s_add_u32 s2, s54, s26
	s_addc_u32 s3, s55, s27
	s_mov_b32 s30, s22
	.p2align	6
.LBB9_25:                               ;   Parent Loop BB9_3 Depth=1
                                        ; =>  This Inner Loop Header: Depth=2
	global_load_dwordx2 v[10:11], v2, s[0:1]
	s_add_i32 s30, s30, 1
	s_waitcnt vmcnt(0)
	v_mul_f64 v[10:11], v[8:9], v[10:11]
	global_store_dwordx2 v2, v[10:11], s[0:1]
	global_load_dwordx2 v[10:11], v2, s[2:3]
	s_add_u32 s0, s0, 8
	s_addc_u32 s1, s1, 0
	s_waitcnt vmcnt(0)
	v_mul_f64 v[10:11], v[8:9], v[10:11]
	global_store_dwordx2 v2, v[10:11], s[2:3]
	s_add_u32 s2, s2, 8
	s_addc_u32 s3, s3, 0
	s_cmp_lt_i32 s30, s24
	s_cbranch_scc1 .LBB9_25
; %bb.26:                               ;   in Loop: Header=BB9_3 Depth=1
	s_mov_b32 s0, -1
	s_branch .LBB9_33
.LBB9_27:                               ;   in Loop: Header=BB9_3 Depth=1
	s_mov_b32 s0, 0
	s_cbranch_execnz .LBB9_29
	s_branch .LBB9_33
.LBB9_28:                               ;   in Loop: Header=BB9_3 Depth=1
	s_branch .LBB9_33
.LBB9_29:                               ;   in Loop: Header=BB9_3 Depth=1
	v_div_scale_f64 v[8:9], null, s[20:21], s[20:21], v[4:5]
	v_div_scale_f64 v[14:15], vcc_lo, v[4:5], s[20:21], v[4:5]
	v_rcp_f64_e32 v[10:11], v[8:9]
	v_fma_f64 v[12:13], -v[8:9], v[10:11], 1.0
	v_fma_f64 v[10:11], v[10:11], v[12:13], v[10:11]
	v_fma_f64 v[12:13], -v[8:9], v[10:11], 1.0
	v_fma_f64 v[10:11], v[10:11], v[12:13], v[10:11]
	v_mul_f64 v[12:13], v[14:15], v[10:11]
	v_fma_f64 v[8:9], -v[8:9], v[12:13], v[14:15]
	v_div_fmas_f64 v[8:9], v[8:9], v[10:11], v[12:13]
	s_and_b32 vcc_lo, exec_lo, s25
	v_div_fixup_f64 v[8:9], v[8:9], s[20:21], v[4:5]
	s_waitcnt vmcnt(0)
	v_mul_f64 v[6:7], v[6:7], v[8:9]
	global_store_dwordx2 v2, v[6:7], s[28:29]
	s_cbranch_vccz .LBB9_33
; %bb.30:                               ;   in Loop: Header=BB9_3 Depth=1
	s_add_u32 s0, s58, s26
	s_addc_u32 s1, s59, s27
	s_add_u32 s2, s54, s26
	s_addc_u32 s3, s55, s27
	s_mov_b32 s30, s22
	.p2align	6
.LBB9_31:                               ;   Parent Loop BB9_3 Depth=1
                                        ; =>  This Inner Loop Header: Depth=2
	global_load_dwordx2 v[6:7], v2, s[0:1]
	s_add_i32 s30, s30, 1
	s_waitcnt vmcnt(0)
	v_mul_f64 v[6:7], v[8:9], v[6:7]
	global_store_dwordx2 v2, v[6:7], s[0:1]
	global_load_dwordx2 v[6:7], v2, s[2:3]
	s_add_u32 s0, s0, 8
	s_addc_u32 s1, s1, 0
	s_waitcnt vmcnt(0)
	v_mul_f64 v[6:7], v[8:9], v[6:7]
	global_store_dwordx2 v2, v[6:7], s[2:3]
	s_add_u32 s2, s2, 8
	s_addc_u32 s3, s3, 0
	s_cmp_ge_i32 s30, s24
	s_cbranch_scc0 .LBB9_31
; %bb.32:                               ;   in Loop: Header=BB9_3 Depth=1
	s_mov_b32 s0, -1
.LBB9_33:                               ;   in Loop: Header=BB9_3 Depth=1
	v_cndmask_b32_e64 v3, 0, 1, s25
	s_and_b32 vcc_lo, exec_lo, s0
	v_cmp_ne_u32_e64 s0, 1, v3
	s_cbranch_vccz .LBB9_37
; %bb.34:                               ;   in Loop: Header=BB9_3 Depth=1
	s_and_b32 vcc_lo, exec_lo, s0
	s_cbranch_vccnz .LBB9_37
; %bb.35:                               ;   in Loop: Header=BB9_3 Depth=1
	s_add_u32 s2, s54, s26
	s_addc_u32 s3, s55, s27
	s_mov_b32 s1, s22
.LBB9_36:                               ;   Parent Loop BB9_3 Depth=1
                                        ; =>  This Inner Loop Header: Depth=2
	global_load_dwordx2 v[6:7], v2, s[2:3]
	s_add_i32 s1, s1, 1
	s_waitcnt vmcnt(0)
	v_mul_f64 v[6:7], v[6:7], v[6:7]
	global_store_dwordx2 v2, v[6:7], s[2:3]
	s_add_u32 s2, s2, 8
	s_addc_u32 s3, s3, 0
	s_cmp_lt_i32 s1, s24
	s_cbranch_scc1 .LBB9_36
.LBB9_37:                               ;   in Loop: Header=BB9_3 Depth=1
	s_add_u32 s2, s50, s26
	s_addc_u32 s3, s51, s27
	s_clause 0x1
	global_load_dwordx2 v[6:7], v2, s[28:29]
	global_load_dwordx2 v[8:9], v2, s[2:3]
	s_mov_b32 s2, -1
                                        ; implicit-def: $sgpr66
	s_waitcnt vmcnt(0)
	v_cmp_lt_f64_e64 s1, |v[6:7]|, |v[8:9]|
	s_and_b32 s1, s1, exec_lo
	s_cselect_b32 s25, s22, s24
	s_cselect_b32 s30, s24, s22
	s_cmp_lt_i32 s65, s52
	s_cselect_b32 s1, -1, 0
	s_cmp_lt_i32 s25, s30
	v_cndmask_b32_e64 v3, 0, 1, s1
	v_cmp_ne_u32_e64 s1, 1, v3
	s_cbranch_scc0 .LBB9_40
; %bb.38:                               ;   in Loop: Header=BB9_3 Depth=1
	s_andn2_b32 vcc_lo, exec_lo, s2
	s_cbranch_vccz .LBB9_42
.LBB9_39:                               ;   in Loop: Header=BB9_3 Depth=1
	v_cmp_lt_f64_e32 vcc_lo, s[20:21], v[4:5]
	s_andn2_b32 vcc_lo, exec_lo, vcc_lo
	s_cbranch_vccz .LBB9_44
	s_branch .LBB9_47
.LBB9_40:                               ;   in Loop: Header=BB9_3 Depth=1
	s_and_b32 vcc_lo, exec_lo, s1
	s_mov_b32 s66, s65
	s_mov_b32 s34, s30
	s_cbranch_vccz .LBB9_54
.LBB9_41:                               ;   in Loop: Header=BB9_3 Depth=1
	s_cbranch_execnz .LBB9_39
.LBB9_42:                               ;   in Loop: Header=BB9_3 Depth=1
	s_and_b32 vcc_lo, exec_lo, s1
	s_cbranch_vccz .LBB9_102
.LBB9_43:                               ;   in Loop: Header=BB9_3 Depth=1
	s_mov_b32 s66, s65
	v_cmp_lt_f64_e32 vcc_lo, s[20:21], v[4:5]
	s_andn2_b32 vcc_lo, exec_lo, vcc_lo
	s_cbranch_vccnz .LBB9_47
.LBB9_44:                               ;   in Loop: Header=BB9_3 Depth=1
	global_load_dwordx2 v[8:9], v2, s[28:29]
	s_waitcnt vmcnt(1)
	v_div_scale_f64 v[6:7], null, v[4:5], v[4:5], s[20:21]
	v_rcp_f64_e32 v[10:11], v[6:7]
	v_fma_f64 v[12:13], -v[6:7], v[10:11], 1.0
	v_fma_f64 v[10:11], v[10:11], v[12:13], v[10:11]
	v_fma_f64 v[12:13], -v[6:7], v[10:11], 1.0
	v_fma_f64 v[10:11], v[10:11], v[12:13], v[10:11]
	v_div_scale_f64 v[12:13], vcc_lo, s[20:21], v[4:5], s[20:21]
	v_mul_f64 v[14:15], v[12:13], v[10:11]
	v_fma_f64 v[6:7], -v[6:7], v[14:15], v[12:13]
	v_div_fmas_f64 v[6:7], v[6:7], v[10:11], v[14:15]
	s_and_b32 vcc_lo, exec_lo, s0
	v_div_fixup_f64 v[6:7], v[6:7], v[4:5], s[20:21]
	s_waitcnt vmcnt(0)
	v_mul_f64 v[8:9], v[6:7], v[8:9]
	global_store_dwordx2 v2, v[8:9], s[28:29]
	s_cbranch_vccnz .LBB9_47
; %bb.45:                               ;   in Loop: Header=BB9_3 Depth=1
	s_add_u32 s2, s58, s26
	s_addc_u32 s3, s59, s27
	s_add_u32 s30, s54, s26
	s_addc_u32 s31, s55, s27
	s_mov_b32 s1, s22
	.p2align	6
.LBB9_46:                               ;   Parent Loop BB9_3 Depth=1
                                        ; =>  This Inner Loop Header: Depth=2
	global_load_dwordx2 v[8:9], v2, s[2:3]
	s_add_i32 s1, s1, 1
	s_waitcnt vmcnt(0)
	v_mul_f64 v[8:9], v[6:7], v[8:9]
	global_store_dwordx2 v2, v[8:9], s[2:3]
	global_load_dwordx2 v[8:9], v2, s[30:31]
	s_add_u32 s2, s2, 8
	s_addc_u32 s3, s3, 0
	s_waitcnt vmcnt(0)
	v_mul_f64 v[8:9], v[6:7], v[8:9]
	global_store_dwordx2 v2, v[8:9], s[30:31]
	s_add_u32 s30, s30, 8
	s_addc_u32 s31, s31, 0
	s_cmp_lt_i32 s1, s24
	s_cbranch_scc1 .LBB9_46
.LBB9_47:                               ;   in Loop: Header=BB9_3 Depth=1
	v_cmp_ngt_f64_e32 vcc_lo, s[18:19], v[4:5]
	s_cbranch_vccnz .LBB9_51
; %bb.48:                               ;   in Loop: Header=BB9_3 Depth=1
	global_load_dwordx2 v[6:7], v2, s[28:29]
	v_div_scale_f64 v[8:9], null, v[4:5], v[4:5], s[18:19]
	v_rcp_f64_e32 v[10:11], v[8:9]
	v_fma_f64 v[12:13], -v[8:9], v[10:11], 1.0
	v_fma_f64 v[10:11], v[10:11], v[12:13], v[10:11]
	v_fma_f64 v[12:13], -v[8:9], v[10:11], 1.0
	v_fma_f64 v[10:11], v[10:11], v[12:13], v[10:11]
	v_div_scale_f64 v[12:13], vcc_lo, s[18:19], v[4:5], s[18:19]
	v_mul_f64 v[14:15], v[12:13], v[10:11]
	v_fma_f64 v[8:9], -v[8:9], v[14:15], v[12:13]
	v_div_fmas_f64 v[8:9], v[8:9], v[10:11], v[14:15]
	s_and_b32 vcc_lo, exec_lo, s0
	v_div_fixup_f64 v[3:4], v[8:9], v[4:5], s[18:19]
	s_waitcnt vmcnt(0)
	v_mul_f64 v[5:6], v[3:4], v[6:7]
	global_store_dwordx2 v2, v[5:6], s[28:29]
	s_cbranch_vccnz .LBB9_51
; %bb.49:                               ;   in Loop: Header=BB9_3 Depth=1
	s_add_u32 s0, s58, s26
	s_addc_u32 s1, s59, s27
	s_add_u32 s2, s54, s26
	s_addc_u32 s3, s55, s27
	.p2align	6
.LBB9_50:                               ;   Parent Loop BB9_3 Depth=1
                                        ; =>  This Inner Loop Header: Depth=2
	global_load_dwordx2 v[5:6], v2, s[0:1]
	s_add_i32 s22, s22, 1
	s_waitcnt vmcnt(0)
	v_mul_f64 v[5:6], v[3:4], v[5:6]
	global_store_dwordx2 v2, v[5:6], s[0:1]
	global_load_dwordx2 v[5:6], v2, s[2:3]
	s_add_u32 s0, s0, 8
	s_addc_u32 s1, s1, 0
	s_waitcnt vmcnt(0)
	v_mul_f64 v[5:6], v[3:4], v[5:6]
	global_store_dwordx2 v2, v[5:6], s[2:3]
	s_add_u32 s2, s2, 8
	s_addc_u32 s3, s3, 0
	s_cmp_lt_i32 s22, s24
	s_cbranch_scc1 .LBB9_50
.LBB9_51:                               ;   in Loop: Header=BB9_3 Depth=1
	s_cmp_ge_i32 s66, s52
	s_cselect_b32 s0, -1, 0
	s_cmp_ge_i32 s23, s33
	s_cselect_b32 s1, -1, 0
	s_or_b32 s0, s1, s0
.LBB9_52:                               ;   in Loop: Header=BB9_3 Depth=1
	s_and_b32 vcc_lo, exec_lo, s0
	s_mov_b32 s65, s66
	s_cbranch_vccz .LBB9_3
	s_branch .LBB9_148
.LBB9_53:                               ;   in Loop: Header=BB9_54 Depth=2
	s_andn2_b32 vcc_lo, exec_lo, s31
	s_cbranch_vccz .LBB9_41
.LBB9_54:                               ;   Parent Loop BB9_3 Depth=1
                                        ; =>  This Loop Header: Depth=2
                                        ;       Child Loop BB9_56 Depth 3
                                        ;       Child Loop BB9_68 Depth 3
	s_ashr_i32 s35, s34, 31
	s_max_i32 s38, s25, s34
	s_lshl_b64 s[40:41], s[34:35], 3
	s_mov_b32 s31, s34
	s_add_u32 s2, s56, s40
	s_addc_u32 s3, s57, s41
	s_add_u32 s36, s60, s40
	s_addc_u32 s37, s61, s41
	s_mov_b32 s35, -1
	s_cmp_ge_i32 s31, s25
	s_mov_b32 s42, -1
                                        ; implicit-def: $sgpr39
	s_cbranch_scc1 .LBB9_56
	.p2align	6
.LBB9_55:                               ;   in Loop: Header=BB9_54 Depth=2
	s_clause 0x1
	global_load_dwordx4 v[6:9], v2, s[36:37] offset:-8
	global_load_dwordx2 v[10:11], v2, s[2:3] offset:8
	s_add_u32 s2, s2, 8
	s_addc_u32 s3, s3, 0
	s_add_i32 s39, s31, 1
	s_add_u32 s36, s36, 8
	s_addc_u32 s37, s37, 0
	s_mov_b32 s35, 0
	s_waitcnt vmcnt(1)
	v_mul_f64 v[6:7], v[6:7], v[8:9]
	v_mul_f64 v[6:7], v[0:1], |v[6:7]|
	s_waitcnt vmcnt(0)
	v_cmp_le_f64_e64 s42, |v[10:11]|, v[6:7]
.LBB9_56:                               ;   Parent Loop BB9_3 Depth=1
                                        ;     Parent Loop BB9_54 Depth=2
                                        ; =>    This Inner Loop Header: Depth=3
	s_andn2_b32 vcc_lo, exec_lo, s42
	s_cbranch_vccz .LBB9_58
; %bb.57:                               ;   in Loop: Header=BB9_56 Depth=3
	s_mov_b32 s31, s39
	s_mov_b32 s35, -1
	s_cmp_ge_i32 s31, s25
	s_mov_b32 s42, -1
                                        ; implicit-def: $sgpr39
	s_cbranch_scc0 .LBB9_55
	s_branch .LBB9_56
.LBB9_58:                               ;   in Loop: Header=BB9_54 Depth=2
	s_andn2_b32 vcc_lo, exec_lo, s35
	s_cbranch_vccz .LBB9_60
; %bb.59:                               ;   in Loop: Header=BB9_54 Depth=2
	v_mov_b32_e32 v3, v2
	s_mov_b32 s38, s31
	global_store_dwordx2 v2, v[2:3], s[2:3]
.LBB9_60:                               ;   in Loop: Header=BB9_54 Depth=2
	s_add_i32 s2, s34, 1
	s_cmp_eq_u32 s38, s34
	s_mov_b32 s31, -1
	s_cbranch_scc1 .LBB9_76
; %bb.61:                               ;   in Loop: Header=BB9_54 Depth=2
	s_add_u32 s36, s50, s40
	s_addc_u32 s37, s51, s41
	s_cmp_lg_u32 s38, s2
	global_load_dwordx2 v[6:7], v2, s[36:37]
	s_cbranch_scc0 .LBB9_77
; %bb.62:                               ;   in Loop: Header=BB9_54 Depth=2
	s_mov_b32 s35, 0
	s_cmp_lg_u32 s66, s52
	s_mov_b32 s3, s52
	s_mov_b32 s2, 0
	s_cbranch_scc0 .LBB9_78
; %bb.63:                               ;   in Loop: Header=BB9_54 Depth=2
	s_add_u32 s42, s14, s40
	s_addc_u32 s43, s15, s41
	s_clause 0x1
	global_load_dwordx2 v[8:9], v2, s[42:43]
	global_load_dwordx2 v[10:11], v2, s[36:37] offset:8
	s_waitcnt vmcnt(1)
	v_cmp_gt_f64_e32 vcc_lo, 0x10000000, v[8:9]
	s_waitcnt vmcnt(0)
	v_add_f64 v[10:11], v[10:11], -v[6:7]
	s_and_b32 s2, vcc_lo, exec_lo
	s_cselect_b32 s2, 0x100, 0
	v_ldexp_f64 v[8:9], v[8:9], s2
	s_cselect_b32 s2, 0xffffff80, 0
	v_rsq_f64_e32 v[12:13], v[8:9]
	v_cmp_class_f64_e64 vcc_lo, v[8:9], 0x260
	v_mul_f64 v[14:15], v[8:9], v[12:13]
	v_mul_f64 v[12:13], v[12:13], 0.5
	v_fma_f64 v[16:17], -v[12:13], v[14:15], 0.5
	v_fma_f64 v[14:15], v[14:15], v[16:17], v[14:15]
	v_fma_f64 v[12:13], v[12:13], v[16:17], v[12:13]
	v_fma_f64 v[16:17], -v[14:15], v[14:15], v[8:9]
	v_fma_f64 v[14:15], v[16:17], v[12:13], v[14:15]
	v_fma_f64 v[16:17], -v[14:15], v[14:15], v[8:9]
	v_fma_f64 v[12:13], v[16:17], v[12:13], v[14:15]
	v_ldexp_f64 v[12:13], v[12:13], s2
	v_cndmask_b32_e32 v9, v13, v9, vcc_lo
	v_cndmask_b32_e32 v8, v12, v8, vcc_lo
	v_add_f64 v[12:13], v[8:9], v[8:9]
	v_div_scale_f64 v[14:15], null, v[12:13], v[12:13], v[10:11]
	v_div_scale_f64 v[20:21], vcc_lo, v[10:11], v[12:13], v[10:11]
	v_rcp_f64_e32 v[16:17], v[14:15]
	v_fma_f64 v[18:19], -v[14:15], v[16:17], 1.0
	v_fma_f64 v[16:17], v[16:17], v[18:19], v[16:17]
	v_fma_f64 v[18:19], -v[14:15], v[16:17], 1.0
	v_fma_f64 v[16:17], v[16:17], v[18:19], v[16:17]
	v_mul_f64 v[18:19], v[20:21], v[16:17]
	v_fma_f64 v[14:15], -v[14:15], v[18:19], v[20:21]
	v_div_fmas_f64 v[14:15], v[14:15], v[16:17], v[18:19]
	v_div_fixup_f64 v[10:11], v[14:15], v[12:13], v[10:11]
	v_fma_f64 v[12:13], v[10:11], v[10:11], 1.0
	v_cmp_gt_f64_e32 vcc_lo, 0x10000000, v[12:13]
	s_and_b32 s2, vcc_lo, exec_lo
	s_cselect_b32 s2, 0x100, 0
	s_cselect_b32 s46, 0xffffff80, 0
	v_ldexp_f64 v[12:13], v[12:13], s2
	s_ashr_i32 s39, s38, 31
	s_lshl_b64 s[2:3], s[38:39], 3
	s_add_u32 s44, s50, s2
	s_addc_u32 s45, s51, s3
	s_cmp_le_i32 s38, s34
	v_rsq_f64_e32 v[14:15], v[12:13]
	v_cmp_class_f64_e64 vcc_lo, v[12:13], 0x260
	v_mul_f64 v[16:17], v[12:13], v[14:15]
	v_mul_f64 v[14:15], v[14:15], 0.5
	v_fma_f64 v[18:19], -v[14:15], v[16:17], 0.5
	v_fma_f64 v[16:17], v[16:17], v[18:19], v[16:17]
	v_fma_f64 v[14:15], v[14:15], v[18:19], v[14:15]
	v_fma_f64 v[18:19], -v[16:17], v[16:17], v[12:13]
	v_fma_f64 v[16:17], v[18:19], v[14:15], v[16:17]
	v_fma_f64 v[18:19], -v[16:17], v[16:17], v[12:13]
	v_fma_f64 v[14:15], v[18:19], v[14:15], v[16:17]
	global_load_dwordx2 v[16:17], v2, s[44:45]
	v_ldexp_f64 v[14:15], v[14:15], s46
	v_cndmask_b32_e32 v3, v15, v13, vcc_lo
	v_cndmask_b32_e32 v12, v14, v12, vcc_lo
	v_cmp_nle_f64_e32 vcc_lo, 0, v[10:11]
	v_and_b32_e32 v13, 0x7fffffff, v3
	v_or_b32_e32 v3, 0x80000000, v3
	v_cndmask_b32_e32 v13, v13, v3, vcc_lo
	v_add_f64 v[10:11], v[10:11], v[12:13]
	v_div_scale_f64 v[12:13], null, v[10:11], v[10:11], v[8:9]
	v_rcp_f64_e32 v[14:15], v[12:13]
	v_fma_f64 v[18:19], -v[12:13], v[14:15], 1.0
	v_fma_f64 v[14:15], v[14:15], v[18:19], v[14:15]
	v_fma_f64 v[18:19], -v[12:13], v[14:15], 1.0
	v_fma_f64 v[14:15], v[14:15], v[18:19], v[14:15]
	v_div_scale_f64 v[18:19], vcc_lo, v[8:9], v[10:11], v[8:9]
	v_mul_f64 v[20:21], v[18:19], v[14:15]
	v_fma_f64 v[12:13], -v[12:13], v[20:21], v[18:19]
	v_div_fmas_f64 v[12:13], v[12:13], v[14:15], v[20:21]
	v_div_fixup_f64 v[8:9], v[12:13], v[10:11], v[8:9]
	v_mov_b32_e32 v12, 0
	v_mov_b32_e32 v13, 0
	v_add_f64 v[8:9], v[6:7], -v[8:9]
	s_waitcnt vmcnt(0)
	v_add_f64 v[14:15], v[16:17], -v[8:9]
	v_mul_f64 v[16:17], v[14:15], v[14:15]
	s_cbranch_scc1 .LBB9_98
; %bb.64:                               ;   in Loop: Header=BB9_54 Depth=2
	s_add_u32 s2, s14, s2
	s_addc_u32 s3, s15, s3
	s_clause 0x1
	global_load_dwordx2 v[10:11], v2, s[2:3] offset:-8
	global_load_dwordx2 v[20:21], v2, s[44:45] offset:-8
	s_waitcnt vmcnt(1)
	v_add_f64 v[18:19], v[16:17], v[10:11]
	v_div_scale_f64 v[12:13], null, v[18:19], v[18:19], v[16:17]
	v_div_scale_f64 v[22:23], null, v[18:19], v[18:19], v[10:11]
	v_div_scale_f64 v[32:33], vcc_lo, v[16:17], v[18:19], v[16:17]
	v_rcp_f64_e32 v[24:25], v[12:13]
	v_rcp_f64_e32 v[26:27], v[22:23]
	v_fma_f64 v[28:29], -v[12:13], v[24:25], 1.0
	v_fma_f64 v[30:31], -v[22:23], v[26:27], 1.0
	v_fma_f64 v[24:25], v[24:25], v[28:29], v[24:25]
	v_fma_f64 v[26:27], v[26:27], v[30:31], v[26:27]
	v_fma_f64 v[28:29], -v[12:13], v[24:25], 1.0
	v_fma_f64 v[30:31], -v[22:23], v[26:27], 1.0
	v_fma_f64 v[24:25], v[24:25], v[28:29], v[24:25]
	v_div_scale_f64 v[28:29], s2, v[10:11], v[18:19], v[10:11]
	v_fma_f64 v[26:27], v[26:27], v[30:31], v[26:27]
	v_mul_f64 v[30:31], v[32:33], v[24:25]
	v_mul_f64 v[34:35], v[28:29], v[26:27]
	v_fma_f64 v[12:13], -v[12:13], v[30:31], v[32:33]
	v_fma_f64 v[22:23], -v[22:23], v[34:35], v[28:29]
	v_div_fmas_f64 v[24:25], v[12:13], v[24:25], v[30:31]
	s_mov_b32 vcc_lo, s2
	v_div_fmas_f64 v[12:13], v[22:23], v[26:27], v[34:35]
	s_waitcnt vmcnt(0)
	v_add_f64 v[22:23], v[20:21], -v[8:9]
	v_div_fixup_f64 v[16:17], v[24:25], v[18:19], v[16:17]
	v_div_fixup_f64 v[12:13], v[12:13], v[18:19], v[10:11]
	v_cmp_eq_f64_e32 vcc_lo, 0, v[16:17]
	v_mul_f64 v[18:19], v[14:15], v[12:13]
	s_and_b32 vcc_lo, exec_lo, vcc_lo
	v_fma_f64 v[18:19], v[16:17], v[22:23], -v[18:19]
	v_add_f64 v[20:21], v[20:21], -v[18:19]
	v_add_f64 v[14:15], v[14:15], v[20:21]
	global_store_dwordx2 v2, v[14:15], s[44:45]
	s_cbranch_vccnz .LBB9_66
; %bb.65:                               ;   in Loop: Header=BB9_54 Depth=2
	v_mul_f64 v[10:11], v[18:19], v[18:19]
	v_div_scale_f64 v[14:15], null, v[16:17], v[16:17], v[10:11]
	v_rcp_f64_e32 v[20:21], v[14:15]
	v_fma_f64 v[22:23], -v[14:15], v[20:21], 1.0
	v_fma_f64 v[20:21], v[20:21], v[22:23], v[20:21]
	v_fma_f64 v[22:23], -v[14:15], v[20:21], 1.0
	v_fma_f64 v[20:21], v[20:21], v[22:23], v[20:21]
	v_div_scale_f64 v[22:23], vcc_lo, v[10:11], v[16:17], v[10:11]
	v_mul_f64 v[24:25], v[22:23], v[20:21]
	v_fma_f64 v[14:15], -v[14:15], v[24:25], v[22:23]
	v_div_fmas_f64 v[14:15], v[14:15], v[20:21], v[24:25]
	v_div_fixup_f64 v[10:11], v[14:15], v[16:17], v[10:11]
.LBB9_66:                               ;   in Loop: Header=BB9_54 Depth=2
	s_add_i32 s2, s38, -1
	s_cmp_le_i32 s2, s34
	s_cbranch_scc1 .LBB9_96
; %bb.67:                               ;   in Loop: Header=BB9_54 Depth=2
	s_add_i32 s2, s38, -2
	s_mov_b32 s39, -1
	s_ashr_i32 s3, s2, 31
	s_lshl_b64 s[2:3], s[2:3], 3
	s_add_u32 s46, s60, s2
	s_addc_u32 s47, s61, s3
	s_add_u32 s48, s62, s2
	s_addc_u32 s49, s63, s3
.LBB9_68:                               ;   Parent Loop BB9_3 Depth=1
                                        ;     Parent Loop BB9_54 Depth=2
                                        ; =>    This Inner Loop Header: Depth=3
	global_load_dwordx2 v[20:21], v2, s[48:49] offset:-8
	s_add_u32 s44, s48, -8
	s_addc_u32 s45, s49, -1
	s_cmp_eq_u32 s39, 0
	s_waitcnt vmcnt(0)
	v_add_f64 v[14:15], v[10:11], v[20:21]
	s_cbranch_scc1 .LBB9_70
; %bb.69:                               ;   in Loop: Header=BB9_68 Depth=3
	v_mul_f64 v[12:13], v[12:13], v[14:15]
	global_store_dwordx2 v2, v[12:13], s[48:49]
.LBB9_70:                               ;   in Loop: Header=BB9_68 Depth=3
	global_load_dwordx2 v[24:25], v2, s[46:47] offset:-8
	v_div_scale_f64 v[12:13], null, v[14:15], v[14:15], v[10:11]
	v_div_scale_f64 v[22:23], null, v[14:15], v[14:15], v[20:21]
	v_div_scale_f64 v[34:35], vcc_lo, v[10:11], v[14:15], v[10:11]
	v_rcp_f64_e32 v[26:27], v[12:13]
	v_rcp_f64_e32 v[28:29], v[22:23]
	v_fma_f64 v[30:31], -v[12:13], v[26:27], 1.0
	v_fma_f64 v[32:33], -v[22:23], v[28:29], 1.0
	v_fma_f64 v[26:27], v[26:27], v[30:31], v[26:27]
	v_fma_f64 v[28:29], v[28:29], v[32:33], v[28:29]
	v_fma_f64 v[30:31], -v[12:13], v[26:27], 1.0
	v_fma_f64 v[32:33], -v[22:23], v[28:29], 1.0
	v_fma_f64 v[26:27], v[26:27], v[30:31], v[26:27]
	v_div_scale_f64 v[30:31], s2, v[20:21], v[14:15], v[20:21]
	v_fma_f64 v[28:29], v[28:29], v[32:33], v[28:29]
	v_mul_f64 v[32:33], v[34:35], v[26:27]
	v_mul_f64 v[36:37], v[30:31], v[28:29]
	v_fma_f64 v[12:13], -v[12:13], v[32:33], v[34:35]
	v_fma_f64 v[22:23], -v[22:23], v[36:37], v[30:31]
	v_div_fmas_f64 v[26:27], v[12:13], v[26:27], v[32:33]
	s_mov_b32 vcc_lo, s2
	s_add_u32 s2, s46, -8
	v_div_fmas_f64 v[12:13], v[22:23], v[28:29], v[36:37]
	s_addc_u32 s3, s47, -1
	v_div_fixup_f64 v[22:23], v[26:27], v[14:15], v[10:11]
	v_div_fixup_f64 v[12:13], v[12:13], v[14:15], v[20:21]
	v_cmp_eq_f64_e32 vcc_lo, 0, v[22:23]
	v_mul_f64 v[10:11], v[18:19], v[12:13]
	s_and_b32 vcc_lo, exec_lo, vcc_lo
	s_waitcnt vmcnt(0)
	v_add_f64 v[14:15], v[24:25], -v[8:9]
	v_fma_f64 v[14:15], v[22:23], v[14:15], -v[10:11]
	v_add_f64 v[10:11], v[24:25], -v[14:15]
	v_add_f64 v[10:11], v[18:19], v[10:11]
	global_store_dwordx2 v2, v[10:11], s[46:47]
	s_cbranch_vccz .LBB9_75
; %bb.71:                               ;   in Loop: Header=BB9_68 Depth=3
	v_mul_f64 v[10:11], v[16:17], v[20:21]
	s_cbranch_execnz .LBB9_73
.LBB9_72:                               ;   in Loop: Header=BB9_68 Depth=3
	v_mul_f64 v[10:11], v[14:15], v[14:15]
	v_div_scale_f64 v[16:17], null, v[22:23], v[22:23], v[10:11]
	v_rcp_f64_e32 v[18:19], v[16:17]
	v_fma_f64 v[20:21], -v[16:17], v[18:19], 1.0
	v_fma_f64 v[18:19], v[18:19], v[20:21], v[18:19]
	v_fma_f64 v[20:21], -v[16:17], v[18:19], 1.0
	v_fma_f64 v[18:19], v[18:19], v[20:21], v[18:19]
	v_div_scale_f64 v[20:21], vcc_lo, v[10:11], v[22:23], v[10:11]
	v_mul_f64 v[24:25], v[20:21], v[18:19]
	v_fma_f64 v[16:17], -v[16:17], v[24:25], v[20:21]
	v_div_fmas_f64 v[16:17], v[16:17], v[18:19], v[24:25]
	v_div_fixup_f64 v[10:11], v[16:17], v[22:23], v[10:11]
.LBB9_73:                               ;   in Loop: Header=BB9_68 Depth=3
	s_add_i32 s39, s39, -1
	s_add_i32 s46, s38, s39
	s_cmp_le_i32 s46, s34
	s_cbranch_scc1 .LBB9_97
; %bb.74:                               ;   in Loop: Header=BB9_68 Depth=3
	v_mov_b32_e32 v16, v22
	v_mov_b32_e32 v19, v15
	;; [unrolled: 1-line block ×4, first 2 shown]
	s_mov_b64 s[48:49], s[44:45]
	s_mov_b64 s[46:47], s[2:3]
	s_branch .LBB9_68
.LBB9_75:                               ;   in Loop: Header=BB9_68 Depth=3
                                        ; implicit-def: $vgpr10_vgpr11
	s_branch .LBB9_72
.LBB9_76:                               ;   in Loop: Header=BB9_54 Depth=2
	s_mov_b32 s34, s2
	s_cbranch_execz .LBB9_53
	s_branch .LBB9_100
.LBB9_77:                               ;   in Loop: Header=BB9_54 Depth=2
	s_mov_b32 s35, -1
	s_mov_b32 s2, 0
                                        ; implicit-def: $sgpr3
.LBB9_78:                               ;   in Loop: Header=BB9_54 Depth=2
	s_and_b32 vcc_lo, exec_lo, s35
	s_cbranch_vccz .LBB9_99
.LBB9_79:                               ;   in Loop: Header=BB9_54 Depth=2
	s_add_u32 s40, s14, s40
	s_addc_u32 s41, s15, s41
	global_load_dwordx2 v[8:9], v2, s[40:41]
	s_waitcnt vmcnt(0)
	v_cmp_gt_f64_e32 vcc_lo, 0x10000000, v[8:9]
	s_and_b32 s2, vcc_lo, exec_lo
	s_cselect_b32 s35, 0x100, 0
	s_cselect_b32 s42, 0xffffff80, 0
	s_ashr_i32 s39, s38, 31
	v_ldexp_f64 v[8:9], v[8:9], s35
	s_lshl_b64 s[2:3], s[38:39], 3
	s_add_u32 s38, s50, s2
	s_addc_u32 s39, s51, s3
	global_load_dwordx2 v[10:11], v2, s[38:39]
	v_rsq_f64_e32 v[12:13], v[8:9]
	v_cmp_class_f64_e64 vcc_lo, v[8:9], 0x260
	v_mul_f64 v[14:15], v[8:9], v[12:13]
	v_mul_f64 v[12:13], v[12:13], 0.5
	v_fma_f64 v[16:17], -v[12:13], v[14:15], 0.5
	v_fma_f64 v[14:15], v[14:15], v[16:17], v[14:15]
	v_fma_f64 v[12:13], v[12:13], v[16:17], v[12:13]
	v_fma_f64 v[16:17], -v[14:15], v[14:15], v[8:9]
	v_fma_f64 v[14:15], v[16:17], v[12:13], v[14:15]
	v_fma_f64 v[16:17], -v[14:15], v[14:15], v[8:9]
	v_fma_f64 v[12:13], v[16:17], v[12:13], v[14:15]
	v_ldexp_f64 v[12:13], v[12:13], s42
	v_cndmask_b32_e32 v9, v13, v9, vcc_lo
	v_cndmask_b32_e32 v8, v12, v8, vcc_lo
	v_add_f64 v[16:17], v[8:9], v[8:9]
	s_waitcnt vmcnt(0)
	v_add_f64 v[14:15], v[6:7], -v[10:11]
	v_cmp_ngt_f64_e64 s2, |v[14:15]|, |v[16:17]|
	s_and_b32 vcc_lo, exec_lo, s2
	s_cbranch_vccz .LBB9_82
; %bb.80:                               ;   in Loop: Header=BB9_54 Depth=2
	v_cmp_nlt_f64_e64 s2, |v[14:15]|, |v[16:17]|
	s_and_b32 vcc_lo, exec_lo, s2
	s_cbranch_vccz .LBB9_83
; %bb.81:                               ;   in Loop: Header=BB9_54 Depth=2
	v_mul_f64 v[12:13], |v[16:17]|, s[12:13]
	s_cbranch_execz .LBB9_84
	s_branch .LBB9_85
.LBB9_82:                               ;   in Loop: Header=BB9_54 Depth=2
                                        ; implicit-def: $vgpr12_vgpr13
	s_branch .LBB9_86
.LBB9_83:                               ;   in Loop: Header=BB9_54 Depth=2
                                        ; implicit-def: $vgpr12_vgpr13
.LBB9_84:                               ;   in Loop: Header=BB9_54 Depth=2
	v_and_b32_e32 v13, 0x7fffffff, v15
	v_mov_b32_e32 v12, v14
	v_and_b32_e32 v19, 0x7fffffff, v17
	v_mov_b32_e32 v18, v16
	v_div_scale_f64 v[20:21], null, v[18:19], v[18:19], v[12:13]
	v_div_scale_f64 v[12:13], vcc_lo, v[12:13], v[18:19], v[12:13]
	v_rcp_f64_e32 v[22:23], v[20:21]
	v_fma_f64 v[24:25], -v[20:21], v[22:23], 1.0
	v_fma_f64 v[22:23], v[22:23], v[24:25], v[22:23]
	v_fma_f64 v[24:25], -v[20:21], v[22:23], 1.0
	v_fma_f64 v[18:19], v[22:23], v[24:25], v[22:23]
	v_mul_f64 v[22:23], v[12:13], v[18:19]
	v_fma_f64 v[12:13], -v[20:21], v[22:23], v[12:13]
	v_div_fmas_f64 v[12:13], v[12:13], v[18:19], v[22:23]
	v_div_fixup_f64 v[12:13], v[12:13], |v[16:17]|, |v[14:15]|
	v_fma_f64 v[12:13], v[12:13], v[12:13], 1.0
	v_cmp_gt_f64_e32 vcc_lo, 0x10000000, v[12:13]
	s_and_b32 s2, vcc_lo, exec_lo
	s_cselect_b32 s2, 0x100, 0
	v_ldexp_f64 v[12:13], v[12:13], s2
	s_cselect_b32 s2, 0xffffff80, 0
	v_rsq_f64_e32 v[18:19], v[12:13]
	v_cmp_class_f64_e64 vcc_lo, v[12:13], 0x260
	v_mul_f64 v[20:21], v[12:13], v[18:19]
	v_mul_f64 v[18:19], v[18:19], 0.5
	v_fma_f64 v[22:23], -v[18:19], v[20:21], 0.5
	v_fma_f64 v[20:21], v[20:21], v[22:23], v[20:21]
	v_fma_f64 v[18:19], v[18:19], v[22:23], v[18:19]
	v_fma_f64 v[22:23], -v[20:21], v[20:21], v[12:13]
	v_fma_f64 v[20:21], v[22:23], v[18:19], v[20:21]
	v_fma_f64 v[22:23], -v[20:21], v[20:21], v[12:13]
	v_fma_f64 v[18:19], v[22:23], v[18:19], v[20:21]
	v_ldexp_f64 v[18:19], v[18:19], s2
	v_cndmask_b32_e32 v13, v19, v13, vcc_lo
	v_cndmask_b32_e32 v12, v18, v12, vcc_lo
	v_mul_f64 v[12:13], |v[16:17]|, v[12:13]
.LBB9_85:                               ;   in Loop: Header=BB9_54 Depth=2
	s_cbranch_execnz .LBB9_87
.LBB9_86:                               ;   in Loop: Header=BB9_54 Depth=2
	v_and_b32_e32 v13, 0x7fffffff, v17
	v_mov_b32_e32 v12, v16
	v_and_b32_e32 v19, 0x7fffffff, v15
	v_mov_b32_e32 v18, v14
	v_div_scale_f64 v[20:21], null, v[18:19], v[18:19], v[12:13]
	v_div_scale_f64 v[12:13], vcc_lo, v[12:13], v[18:19], v[12:13]
	v_rcp_f64_e32 v[22:23], v[20:21]
	v_fma_f64 v[24:25], -v[20:21], v[22:23], 1.0
	v_fma_f64 v[22:23], v[22:23], v[24:25], v[22:23]
	v_fma_f64 v[24:25], -v[20:21], v[22:23], 1.0
	v_fma_f64 v[18:19], v[22:23], v[24:25], v[22:23]
	v_mul_f64 v[22:23], v[12:13], v[18:19]
	v_fma_f64 v[12:13], -v[20:21], v[22:23], v[12:13]
	v_div_fmas_f64 v[12:13], v[12:13], v[18:19], v[22:23]
	v_div_fixup_f64 v[12:13], v[12:13], |v[14:15]|, |v[16:17]|
	v_fma_f64 v[12:13], v[12:13], v[12:13], 1.0
	v_cmp_gt_f64_e32 vcc_lo, 0x10000000, v[12:13]
	s_and_b32 s2, vcc_lo, exec_lo
	s_cselect_b32 s2, 0x100, 0
	v_ldexp_f64 v[12:13], v[12:13], s2
	s_cselect_b32 s2, 0xffffff80, 0
	v_rsq_f64_e32 v[16:17], v[12:13]
	v_cmp_class_f64_e64 vcc_lo, v[12:13], 0x260
	v_mul_f64 v[18:19], v[12:13], v[16:17]
	v_mul_f64 v[16:17], v[16:17], 0.5
	v_fma_f64 v[20:21], -v[16:17], v[18:19], 0.5
	v_fma_f64 v[18:19], v[18:19], v[20:21], v[18:19]
	v_fma_f64 v[16:17], v[16:17], v[20:21], v[16:17]
	v_fma_f64 v[20:21], -v[18:19], v[18:19], v[12:13]
	v_fma_f64 v[18:19], v[20:21], v[16:17], v[18:19]
	v_fma_f64 v[20:21], -v[18:19], v[18:19], v[12:13]
	v_fma_f64 v[16:17], v[20:21], v[16:17], v[18:19]
	v_ldexp_f64 v[16:17], v[16:17], s2
	v_cndmask_b32_e32 v13, v17, v13, vcc_lo
	v_cndmask_b32_e32 v12, v16, v12, vcc_lo
	v_mul_f64 v[12:13], |v[14:15]|, v[12:13]
.LBB9_87:                               ;   in Loop: Header=BB9_54 Depth=2
	v_add_f64 v[16:17], v[6:7], v[10:11]
	v_cmp_gt_f64_e64 vcc_lo, |v[6:7]|, |v[10:11]|
	v_cmp_ngt_f64_e64 s2, 0, v[16:17]
	v_cndmask_b32_e32 v15, v7, v11, vcc_lo
	v_cndmask_b32_e32 v14, v6, v10, vcc_lo
	;; [unrolled: 1-line block ×4, first 2 shown]
	s_and_b32 vcc_lo, exec_lo, s2
	s_cbranch_vccz .LBB9_90
; %bb.88:                               ;   in Loop: Header=BB9_54 Depth=2
	v_cmp_nlt_f64_e32 vcc_lo, 0, v[16:17]
	s_cbranch_vccz .LBB9_91
; %bb.89:                               ;   in Loop: Header=BB9_54 Depth=2
	v_mul_f64 v[10:11], v[12:13], 0.5
	v_mul_f64 v[18:19], v[12:13], -0.5
	s_cbranch_execz .LBB9_92
	s_branch .LBB9_93
.LBB9_90:                               ;   in Loop: Header=BB9_54 Depth=2
                                        ; implicit-def: $vgpr18_vgpr19
                                        ; implicit-def: $vgpr10_vgpr11
	s_branch .LBB9_94
.LBB9_91:                               ;   in Loop: Header=BB9_54 Depth=2
                                        ; implicit-def: $vgpr18_vgpr19
                                        ; implicit-def: $vgpr10_vgpr11
.LBB9_92:                               ;   in Loop: Header=BB9_54 Depth=2
	v_add_f64 v[10:11], v[16:17], v[12:13]
	v_mul_f64 v[10:11], v[10:11], 0.5
	v_div_scale_f64 v[18:19], null, v[10:11], v[10:11], v[6:7]
	v_div_scale_f64 v[20:21], null, v[10:11], v[10:11], v[8:9]
	v_div_scale_f64 v[30:31], vcc_lo, v[6:7], v[10:11], v[6:7]
	v_rcp_f64_e32 v[22:23], v[18:19]
	v_rcp_f64_e32 v[24:25], v[20:21]
	v_fma_f64 v[26:27], -v[18:19], v[22:23], 1.0
	v_fma_f64 v[28:29], -v[20:21], v[24:25], 1.0
	v_fma_f64 v[22:23], v[22:23], v[26:27], v[22:23]
	v_fma_f64 v[24:25], v[24:25], v[28:29], v[24:25]
	v_fma_f64 v[26:27], -v[18:19], v[22:23], 1.0
	v_fma_f64 v[28:29], -v[20:21], v[24:25], 1.0
	v_fma_f64 v[22:23], v[22:23], v[26:27], v[22:23]
	v_div_scale_f64 v[26:27], s2, v[8:9], v[10:11], v[8:9]
	v_fma_f64 v[24:25], v[24:25], v[28:29], v[24:25]
	v_mul_f64 v[28:29], v[30:31], v[22:23]
	v_mul_f64 v[32:33], v[26:27], v[24:25]
	v_fma_f64 v[18:19], -v[18:19], v[28:29], v[30:31]
	v_fma_f64 v[20:21], -v[20:21], v[32:33], v[26:27]
	v_div_fmas_f64 v[18:19], v[18:19], v[22:23], v[28:29]
	s_mov_b32 vcc_lo, s2
	v_div_fmas_f64 v[20:21], v[20:21], v[24:25], v[32:33]
	v_div_fixup_f64 v[18:19], v[18:19], v[10:11], v[6:7]
	v_div_fixup_f64 v[20:21], v[20:21], v[10:11], v[8:9]
	v_mul_f64 v[20:21], v[8:9], v[20:21]
	v_fma_f64 v[18:19], v[14:15], v[18:19], -v[20:21]
.LBB9_93:                               ;   in Loop: Header=BB9_54 Depth=2
	s_cbranch_execnz .LBB9_95
.LBB9_94:                               ;   in Loop: Header=BB9_54 Depth=2
	v_add_f64 v[10:11], v[16:17], -v[12:13]
	v_mul_f64 v[10:11], v[10:11], 0.5
	v_div_scale_f64 v[12:13], null, v[10:11], v[10:11], v[6:7]
	v_div_scale_f64 v[16:17], null, v[10:11], v[10:11], v[8:9]
	v_div_scale_f64 v[26:27], vcc_lo, v[6:7], v[10:11], v[6:7]
	v_rcp_f64_e32 v[18:19], v[12:13]
	v_rcp_f64_e32 v[20:21], v[16:17]
	v_fma_f64 v[22:23], -v[12:13], v[18:19], 1.0
	v_fma_f64 v[24:25], -v[16:17], v[20:21], 1.0
	v_fma_f64 v[18:19], v[18:19], v[22:23], v[18:19]
	v_fma_f64 v[20:21], v[20:21], v[24:25], v[20:21]
	v_fma_f64 v[22:23], -v[12:13], v[18:19], 1.0
	v_fma_f64 v[24:25], -v[16:17], v[20:21], 1.0
	v_fma_f64 v[18:19], v[18:19], v[22:23], v[18:19]
	v_div_scale_f64 v[22:23], s2, v[8:9], v[10:11], v[8:9]
	v_fma_f64 v[20:21], v[20:21], v[24:25], v[20:21]
	v_mul_f64 v[24:25], v[26:27], v[18:19]
	v_mul_f64 v[28:29], v[22:23], v[20:21]
	v_fma_f64 v[12:13], -v[12:13], v[24:25], v[26:27]
	v_fma_f64 v[16:17], -v[16:17], v[28:29], v[22:23]
	v_div_fmas_f64 v[12:13], v[12:13], v[18:19], v[24:25]
	s_mov_b32 vcc_lo, s2
	v_div_fmas_f64 v[16:17], v[16:17], v[20:21], v[28:29]
	v_div_fixup_f64 v[6:7], v[12:13], v[10:11], v[6:7]
	v_div_fixup_f64 v[16:17], v[16:17], v[10:11], v[8:9]
	v_mul_f64 v[8:9], v[8:9], v[16:17]
	v_fma_f64 v[18:19], v[14:15], v[6:7], -v[8:9]
.LBB9_95:                               ;   in Loop: Header=BB9_54 Depth=2
	v_mov_b32_e32 v3, v2
	global_store_dwordx2 v2, v[10:11], s[36:37]
	global_store_dwordx2 v2, v[18:19], s[38:39]
	s_add_i32 s34, s34, 2
	global_store_dwordx2 v2, v[2:3], s[40:41]
	s_cbranch_execz .LBB9_53
	s_branch .LBB9_100
.LBB9_96:                               ;   in Loop: Header=BB9_54 Depth=2
	v_mov_b32_e32 v14, v18
	v_mov_b32_e32 v15, v19
.LBB9_97:                               ;   in Loop: Header=BB9_54 Depth=2
	v_mov_b32_e32 v17, v11
	v_mov_b32_e32 v16, v10
.LBB9_98:                               ;   in Loop: Header=BB9_54 Depth=2
	v_mul_f64 v[10:11], v[12:13], v[16:17]
	v_add_f64 v[8:9], v[8:9], v[14:15]
	s_add_i32 s3, s66, 1
	s_mov_b32 s2, -1
	global_store_dwordx2 v2, v[10:11], s[42:43]
	global_store_dwordx2 v2, v[8:9], s[36:37]
	s_and_b32 vcc_lo, exec_lo, s35
	s_cbranch_vccnz .LBB9_79
.LBB9_99:                               ;   in Loop: Header=BB9_54 Depth=2
	s_mov_b32 s66, s3
	s_and_b32 vcc_lo, exec_lo, s2
	s_cbranch_vccz .LBB9_53
.LBB9_100:                              ;   in Loop: Header=BB9_54 Depth=2
	s_cmp_gt_i32 s34, s25
	s_cselect_b32 s2, -1, 0
	s_cmp_ge_i32 s66, s52
	s_cselect_b32 s3, -1, 0
	s_or_b32 s31, s2, s3
	s_branch .LBB9_53
.LBB9_101:                              ;   in Loop: Header=BB9_102 Depth=2
	s_andn2_b32 vcc_lo, exec_lo, s31
	s_cbranch_vccz .LBB9_43
.LBB9_102:                              ;   Parent Loop BB9_3 Depth=1
                                        ; =>  This Loop Header: Depth=2
                                        ;       Child Loop BB9_104 Depth 3
                                        ;       Child Loop BB9_117 Depth 3
	s_ashr_i32 s31, s30, 31
	s_min_i32 s34, s25, s30
	s_lshl_b64 s[36:37], s[30:31], 3
	s_mov_b32 s1, s30
	s_add_u32 s38, s58, s36
	s_addc_u32 s39, s59, s37
	s_add_u32 s2, s62, s36
	s_addc_u32 s3, s63, s37
	s_mov_b32 s31, -1
	s_cmp_le_i32 s1, s25
	s_mov_b32 s40, -1
                                        ; implicit-def: $sgpr35
	s_cbranch_scc1 .LBB9_104
	.p2align	6
.LBB9_103:                              ;   in Loop: Header=BB9_102 Depth=2
	s_clause 0x1
	global_load_dwordx4 v[6:9], v2, s[38:39] offset:-8
	global_load_dwordx2 v[10:11], v2, s[2:3] offset:-16
	s_add_i32 s35, s1, -1
	s_add_u32 s38, s38, -8
	s_addc_u32 s39, s39, -1
	s_add_u32 s2, s2, -8
	s_addc_u32 s3, s3, -1
	s_mov_b32 s31, 0
	s_waitcnt vmcnt(1)
	v_mul_f64 v[6:7], v[8:9], v[6:7]
	v_mul_f64 v[6:7], v[0:1], |v[6:7]|
	s_waitcnt vmcnt(0)
	v_cmp_le_f64_e64 s40, |v[10:11]|, v[6:7]
.LBB9_104:                              ;   Parent Loop BB9_3 Depth=1
                                        ;     Parent Loop BB9_102 Depth=2
                                        ; =>    This Inner Loop Header: Depth=3
	s_andn2_b32 vcc_lo, exec_lo, s40
	s_cbranch_vccz .LBB9_106
; %bb.105:                              ;   in Loop: Header=BB9_104 Depth=3
	s_mov_b32 s1, s35
	s_mov_b32 s31, -1
	s_cmp_le_i32 s1, s25
	s_mov_b32 s40, -1
                                        ; implicit-def: $sgpr35
	s_cbranch_scc0 .LBB9_103
	s_branch .LBB9_104
.LBB9_106:                              ;   in Loop: Header=BB9_102 Depth=2
	s_andn2_b32 vcc_lo, exec_lo, s31
	s_cbranch_vccz .LBB9_108
; %bb.107:                              ;   in Loop: Header=BB9_102 Depth=2
	v_mov_b32_e32 v3, v2
	s_mov_b32 s34, s1
	global_store_dwordx2 v2, v[2:3], s[2:3] offset:-8
.LBB9_108:                              ;   in Loop: Header=BB9_102 Depth=2
	s_add_i32 s1, s30, -1
	s_cmp_eq_u32 s34, s30
	s_mov_b32 s31, -1
	s_cbranch_scc1 .LBB9_123
; %bb.109:                              ;   in Loop: Header=BB9_102 Depth=2
	s_add_u32 s2, s50, s36
	s_addc_u32 s3, s51, s37
	s_cmp_lg_u32 s34, s1
	global_load_dwordx2 v[6:7], v2, s[2:3]
	s_cbranch_scc0 .LBB9_124
; %bb.110:                              ;   in Loop: Header=BB9_102 Depth=2
	s_mov_b32 s42, 0
	s_cmp_lg_u32 s65, s52
	s_mov_b32 s35, s52
	s_mov_b32 s1, 0
	s_cbranch_scc0 .LBB9_125
; %bb.111:                              ;   in Loop: Header=BB9_102 Depth=2
	s_add_u32 s36, s14, s36
	s_addc_u32 s37, s15, s37
	s_clause 0x1
	global_load_dwordx2 v[8:9], v2, s[36:37] offset:-8
	global_load_dwordx2 v[10:11], v2, s[2:3] offset:-8
	s_waitcnt vmcnt(1)
	v_cmp_gt_f64_e32 vcc_lo, 0x10000000, v[8:9]
	s_waitcnt vmcnt(0)
	v_add_f64 v[10:11], v[10:11], -v[6:7]
	s_and_b32 s1, vcc_lo, exec_lo
	s_cselect_b32 s1, 0x100, 0
	v_ldexp_f64 v[8:9], v[8:9], s1
	s_cselect_b32 s1, 0xffffff80, 0
	v_rsq_f64_e32 v[12:13], v[8:9]
	v_cmp_class_f64_e64 vcc_lo, v[8:9], 0x260
	v_mul_f64 v[14:15], v[8:9], v[12:13]
	v_mul_f64 v[12:13], v[12:13], 0.5
	v_fma_f64 v[16:17], -v[12:13], v[14:15], 0.5
	v_fma_f64 v[14:15], v[14:15], v[16:17], v[14:15]
	v_fma_f64 v[12:13], v[12:13], v[16:17], v[12:13]
	v_fma_f64 v[16:17], -v[14:15], v[14:15], v[8:9]
	v_fma_f64 v[14:15], v[16:17], v[12:13], v[14:15]
	v_fma_f64 v[16:17], -v[14:15], v[14:15], v[8:9]
	v_fma_f64 v[12:13], v[16:17], v[12:13], v[14:15]
	v_ldexp_f64 v[12:13], v[12:13], s1
	v_cndmask_b32_e32 v9, v13, v9, vcc_lo
	v_cndmask_b32_e32 v8, v12, v8, vcc_lo
	v_add_f64 v[12:13], v[8:9], v[8:9]
	v_div_scale_f64 v[14:15], null, v[12:13], v[12:13], v[10:11]
	v_div_scale_f64 v[20:21], vcc_lo, v[10:11], v[12:13], v[10:11]
	v_rcp_f64_e32 v[16:17], v[14:15]
	v_fma_f64 v[18:19], -v[14:15], v[16:17], 1.0
	v_fma_f64 v[16:17], v[16:17], v[18:19], v[16:17]
	v_fma_f64 v[18:19], -v[14:15], v[16:17], 1.0
	v_fma_f64 v[16:17], v[16:17], v[18:19], v[16:17]
	v_mul_f64 v[18:19], v[20:21], v[16:17]
	v_fma_f64 v[14:15], -v[14:15], v[18:19], v[20:21]
	v_div_fmas_f64 v[14:15], v[14:15], v[16:17], v[18:19]
	v_div_fixup_f64 v[10:11], v[14:15], v[12:13], v[10:11]
	v_fma_f64 v[12:13], v[10:11], v[10:11], 1.0
	v_cmp_gt_f64_e32 vcc_lo, 0x10000000, v[12:13]
	s_and_b32 s1, vcc_lo, exec_lo
	s_cselect_b32 s1, 0x100, 0
	v_ldexp_f64 v[12:13], v[12:13], s1
	s_cselect_b32 s1, 0xffffff80, 0
	s_ashr_i32 s35, s34, 31
	s_lshl_b64 s[40:41], s[34:35], 3
	s_add_u32 s38, s50, s40
	s_addc_u32 s39, s51, s41
	s_cmp_ge_i32 s34, s30
	v_rsq_f64_e32 v[14:15], v[12:13]
	v_cmp_class_f64_e64 vcc_lo, v[12:13], 0x260
	v_mul_f64 v[16:17], v[12:13], v[14:15]
	v_mul_f64 v[14:15], v[14:15], 0.5
	v_fma_f64 v[18:19], -v[14:15], v[16:17], 0.5
	v_fma_f64 v[16:17], v[16:17], v[18:19], v[16:17]
	v_fma_f64 v[14:15], v[14:15], v[18:19], v[14:15]
	v_fma_f64 v[18:19], -v[16:17], v[16:17], v[12:13]
	v_fma_f64 v[16:17], v[18:19], v[14:15], v[16:17]
	v_fma_f64 v[18:19], -v[16:17], v[16:17], v[12:13]
	v_fma_f64 v[14:15], v[18:19], v[14:15], v[16:17]
	global_load_dwordx2 v[16:17], v2, s[38:39]
	v_ldexp_f64 v[14:15], v[14:15], s1
	v_cndmask_b32_e32 v3, v15, v13, vcc_lo
	v_cndmask_b32_e32 v12, v14, v12, vcc_lo
	v_cmp_nle_f64_e32 vcc_lo, 0, v[10:11]
	v_and_b32_e32 v13, 0x7fffffff, v3
	v_or_b32_e32 v3, 0x80000000, v3
	v_cndmask_b32_e32 v13, v13, v3, vcc_lo
	v_add_f64 v[10:11], v[10:11], v[12:13]
	v_div_scale_f64 v[12:13], null, v[10:11], v[10:11], v[8:9]
	v_rcp_f64_e32 v[14:15], v[12:13]
	v_fma_f64 v[18:19], -v[12:13], v[14:15], 1.0
	v_fma_f64 v[14:15], v[14:15], v[18:19], v[14:15]
	v_fma_f64 v[18:19], -v[12:13], v[14:15], 1.0
	v_fma_f64 v[14:15], v[14:15], v[18:19], v[14:15]
	v_div_scale_f64 v[18:19], vcc_lo, v[8:9], v[10:11], v[8:9]
	v_mul_f64 v[20:21], v[18:19], v[14:15]
	v_fma_f64 v[12:13], -v[12:13], v[20:21], v[18:19]
	v_div_fmas_f64 v[12:13], v[12:13], v[14:15], v[20:21]
	v_div_fixup_f64 v[8:9], v[12:13], v[10:11], v[8:9]
	v_mov_b32_e32 v12, 0
	v_mov_b32_e32 v13, 0
	v_add_f64 v[8:9], v[6:7], -v[8:9]
	s_waitcnt vmcnt(0)
	v_add_f64 v[14:15], v[16:17], -v[8:9]
	v_mul_f64 v[16:17], v[14:15], v[14:15]
	s_cbranch_scc1 .LBB9_145
; %bb.112:                              ;   in Loop: Header=BB9_102 Depth=2
	s_add_u32 s40, s14, s40
	s_addc_u32 s41, s15, s41
	s_clause 0x1
	global_load_dwordx2 v[10:11], v2, s[40:41]
	global_load_dwordx2 v[20:21], v2, s[38:39] offset:8
	s_waitcnt vmcnt(1)
	v_add_f64 v[18:19], v[16:17], v[10:11]
	v_div_scale_f64 v[12:13], null, v[18:19], v[18:19], v[16:17]
	v_div_scale_f64 v[22:23], null, v[18:19], v[18:19], v[10:11]
	v_div_scale_f64 v[32:33], vcc_lo, v[16:17], v[18:19], v[16:17]
	v_rcp_f64_e32 v[24:25], v[12:13]
	v_rcp_f64_e32 v[26:27], v[22:23]
	v_fma_f64 v[28:29], -v[12:13], v[24:25], 1.0
	v_fma_f64 v[30:31], -v[22:23], v[26:27], 1.0
	v_fma_f64 v[24:25], v[24:25], v[28:29], v[24:25]
	v_fma_f64 v[26:27], v[26:27], v[30:31], v[26:27]
	v_fma_f64 v[28:29], -v[12:13], v[24:25], 1.0
	v_fma_f64 v[30:31], -v[22:23], v[26:27], 1.0
	v_fma_f64 v[24:25], v[24:25], v[28:29], v[24:25]
	v_div_scale_f64 v[28:29], s1, v[10:11], v[18:19], v[10:11]
	v_fma_f64 v[26:27], v[26:27], v[30:31], v[26:27]
	v_mul_f64 v[30:31], v[32:33], v[24:25]
	v_mul_f64 v[34:35], v[28:29], v[26:27]
	v_fma_f64 v[12:13], -v[12:13], v[30:31], v[32:33]
	v_fma_f64 v[22:23], -v[22:23], v[34:35], v[28:29]
	v_div_fmas_f64 v[24:25], v[12:13], v[24:25], v[30:31]
	s_mov_b32 vcc_lo, s1
	v_div_fmas_f64 v[12:13], v[22:23], v[26:27], v[34:35]
	s_waitcnt vmcnt(0)
	v_add_f64 v[22:23], v[20:21], -v[8:9]
	v_div_fixup_f64 v[16:17], v[24:25], v[18:19], v[16:17]
	v_div_fixup_f64 v[12:13], v[12:13], v[18:19], v[10:11]
	v_cmp_eq_f64_e32 vcc_lo, 0, v[16:17]
	v_mul_f64 v[18:19], v[14:15], v[12:13]
	s_and_b32 vcc_lo, exec_lo, vcc_lo
	v_fma_f64 v[18:19], v[16:17], v[22:23], -v[18:19]
	v_add_f64 v[20:21], v[20:21], -v[18:19]
	v_add_f64 v[14:15], v[14:15], v[20:21]
	global_store_dwordx2 v2, v[14:15], s[38:39]
	s_cbranch_vccnz .LBB9_114
; %bb.113:                              ;   in Loop: Header=BB9_102 Depth=2
	v_mul_f64 v[10:11], v[18:19], v[18:19]
	v_div_scale_f64 v[14:15], null, v[16:17], v[16:17], v[10:11]
	v_rcp_f64_e32 v[20:21], v[14:15]
	v_fma_f64 v[22:23], -v[14:15], v[20:21], 1.0
	v_fma_f64 v[20:21], v[20:21], v[22:23], v[20:21]
	v_fma_f64 v[22:23], -v[14:15], v[20:21], 1.0
	v_fma_f64 v[20:21], v[20:21], v[22:23], v[20:21]
	v_div_scale_f64 v[22:23], vcc_lo, v[10:11], v[16:17], v[10:11]
	v_mul_f64 v[24:25], v[22:23], v[20:21]
	v_fma_f64 v[14:15], -v[14:15], v[24:25], v[22:23]
	v_div_fmas_f64 v[14:15], v[14:15], v[20:21], v[24:25]
	v_div_fixup_f64 v[10:11], v[14:15], v[16:17], v[10:11]
.LBB9_114:                              ;   in Loop: Header=BB9_102 Depth=2
	s_add_i32 s38, s34, 1
	s_cmp_ge_i32 s38, s30
	s_cbranch_scc1 .LBB9_143
; %bb.115:                              ;   in Loop: Header=BB9_102 Depth=2
	s_ashr_i32 s39, s38, 31
	s_mov_b32 s35, 1
	s_lshl_b64 s[40:41], s[38:39], 3
	s_add_u32 s38, s54, s40
	s_addc_u32 s39, s55, s41
	s_add_u32 s40, s60, s40
	s_addc_u32 s41, s61, s41
	global_load_dwordx2 v[20:21], v2, s[38:39]
	s_cmp_eq_u32 s35, 0
	s_waitcnt vmcnt(0)
	v_add_f64 v[14:15], v[10:11], v[20:21]
	s_cbranch_scc1 .LBB9_117
.LBB9_116:                              ;   in Loop: Header=BB9_102 Depth=2
	v_mul_f64 v[12:13], v[12:13], v[14:15]
	global_store_dwordx2 v2, v[12:13], s[38:39] offset:-8
.LBB9_117:                              ;   Parent Loop BB9_3 Depth=1
                                        ;     Parent Loop BB9_102 Depth=2
                                        ; =>    This Inner Loop Header: Depth=3
	global_load_dwordx2 v[24:25], v2, s[40:41]
	v_div_scale_f64 v[12:13], null, v[14:15], v[14:15], v[10:11]
	v_div_scale_f64 v[22:23], null, v[14:15], v[14:15], v[20:21]
	v_div_scale_f64 v[34:35], vcc_lo, v[10:11], v[14:15], v[10:11]
	v_rcp_f64_e32 v[26:27], v[12:13]
	v_rcp_f64_e32 v[28:29], v[22:23]
	v_fma_f64 v[30:31], -v[12:13], v[26:27], 1.0
	v_fma_f64 v[32:33], -v[22:23], v[28:29], 1.0
	v_fma_f64 v[26:27], v[26:27], v[30:31], v[26:27]
	v_fma_f64 v[28:29], v[28:29], v[32:33], v[28:29]
	v_fma_f64 v[30:31], -v[12:13], v[26:27], 1.0
	v_fma_f64 v[32:33], -v[22:23], v[28:29], 1.0
	v_fma_f64 v[26:27], v[26:27], v[30:31], v[26:27]
	v_div_scale_f64 v[30:31], s1, v[20:21], v[14:15], v[20:21]
	v_fma_f64 v[28:29], v[28:29], v[32:33], v[28:29]
	v_mul_f64 v[32:33], v[34:35], v[26:27]
	v_mul_f64 v[36:37], v[30:31], v[28:29]
	v_fma_f64 v[12:13], -v[12:13], v[32:33], v[34:35]
	v_fma_f64 v[22:23], -v[22:23], v[36:37], v[30:31]
	v_div_fmas_f64 v[26:27], v[12:13], v[26:27], v[32:33]
	s_mov_b32 vcc_lo, s1
	v_div_fmas_f64 v[12:13], v[22:23], v[28:29], v[36:37]
	v_div_fixup_f64 v[22:23], v[26:27], v[14:15], v[10:11]
	v_div_fixup_f64 v[12:13], v[12:13], v[14:15], v[20:21]
	v_cmp_eq_f64_e32 vcc_lo, 0, v[22:23]
	v_mul_f64 v[10:11], v[18:19], v[12:13]
	s_and_b32 vcc_lo, exec_lo, vcc_lo
	s_waitcnt vmcnt(0)
	v_add_f64 v[14:15], v[24:25], -v[8:9]
	v_fma_f64 v[14:15], v[22:23], v[14:15], -v[10:11]
	v_add_f64 v[10:11], v[24:25], -v[14:15]
	v_add_f64 v[10:11], v[18:19], v[10:11]
	global_store_dwordx2 v2, v[10:11], s[40:41] offset:-8
	s_cbranch_vccz .LBB9_122
; %bb.118:                              ;   in Loop: Header=BB9_117 Depth=3
	v_mul_f64 v[10:11], v[16:17], v[20:21]
	s_cbranch_execnz .LBB9_120
.LBB9_119:                              ;   in Loop: Header=BB9_117 Depth=3
	v_mul_f64 v[10:11], v[14:15], v[14:15]
	v_div_scale_f64 v[16:17], null, v[22:23], v[22:23], v[10:11]
	v_rcp_f64_e32 v[18:19], v[16:17]
	v_fma_f64 v[20:21], -v[16:17], v[18:19], 1.0
	v_fma_f64 v[18:19], v[18:19], v[20:21], v[18:19]
	v_fma_f64 v[20:21], -v[16:17], v[18:19], 1.0
	v_fma_f64 v[18:19], v[18:19], v[20:21], v[18:19]
	v_div_scale_f64 v[20:21], vcc_lo, v[10:11], v[22:23], v[10:11]
	v_mul_f64 v[24:25], v[20:21], v[18:19]
	v_fma_f64 v[16:17], -v[16:17], v[24:25], v[20:21]
	v_div_fmas_f64 v[16:17], v[16:17], v[18:19], v[24:25]
	v_div_fixup_f64 v[10:11], v[16:17], v[22:23], v[10:11]
.LBB9_120:                              ;   in Loop: Header=BB9_117 Depth=3
	s_add_i32 s35, s35, 1
	s_add_i32 s1, s34, s35
	s_add_u32 s38, s38, 8
	s_addc_u32 s39, s39, 0
	s_add_u32 s40, s40, 8
	s_addc_u32 s41, s41, 0
	s_cmp_ge_i32 s1, s30
	s_cbranch_scc1 .LBB9_144
; %bb.121:                              ;   in Loop: Header=BB9_117 Depth=3
	v_mov_b32_e32 v16, v22
	v_mov_b32_e32 v19, v15
	;; [unrolled: 1-line block ×4, first 2 shown]
	global_load_dwordx2 v[20:21], v2, s[38:39]
	s_cmp_eq_u32 s35, 0
	s_waitcnt vmcnt(0)
	v_add_f64 v[14:15], v[10:11], v[20:21]
	s_cbranch_scc0 .LBB9_116
	s_branch .LBB9_117
.LBB9_122:                              ;   in Loop: Header=BB9_117 Depth=3
                                        ; implicit-def: $vgpr10_vgpr11
	s_branch .LBB9_119
.LBB9_123:                              ;   in Loop: Header=BB9_102 Depth=2
	s_mov_b32 s30, s1
	s_cbranch_execz .LBB9_101
	s_branch .LBB9_147
.LBB9_124:                              ;   in Loop: Header=BB9_102 Depth=2
	s_mov_b32 s42, -1
	s_mov_b32 s1, 0
                                        ; implicit-def: $sgpr35
.LBB9_125:                              ;   in Loop: Header=BB9_102 Depth=2
	s_and_b32 vcc_lo, exec_lo, s42
	s_cbranch_vccz .LBB9_146
.LBB9_126:                              ;   in Loop: Header=BB9_102 Depth=2
	s_ashr_i32 s35, s34, 31
	s_lshl_b64 s[36:37], s[34:35], 3
	s_add_u32 s34, s14, s36
	s_addc_u32 s35, s15, s37
	global_load_dwordx2 v[8:9], v2, s[34:35]
	s_waitcnt vmcnt(0)
	v_cmp_gt_f64_e32 vcc_lo, 0x10000000, v[8:9]
	s_and_b32 s1, vcc_lo, exec_lo
	s_cselect_b32 s1, 0x100, 0
	s_cselect_b32 s38, 0xffffff80, 0
	s_add_u32 s36, s50, s36
	s_addc_u32 s37, s51, s37
	v_ldexp_f64 v[8:9], v[8:9], s1
	global_load_dwordx2 v[10:11], v2, s[36:37]
	v_rsq_f64_e32 v[12:13], v[8:9]
	v_cmp_class_f64_e64 vcc_lo, v[8:9], 0x260
	v_mul_f64 v[14:15], v[8:9], v[12:13]
	v_mul_f64 v[12:13], v[12:13], 0.5
	v_fma_f64 v[16:17], -v[12:13], v[14:15], 0.5
	v_fma_f64 v[14:15], v[14:15], v[16:17], v[14:15]
	v_fma_f64 v[12:13], v[12:13], v[16:17], v[12:13]
	v_fma_f64 v[16:17], -v[14:15], v[14:15], v[8:9]
	v_fma_f64 v[14:15], v[16:17], v[12:13], v[14:15]
	v_fma_f64 v[16:17], -v[14:15], v[14:15], v[8:9]
	v_fma_f64 v[12:13], v[16:17], v[12:13], v[14:15]
	v_ldexp_f64 v[12:13], v[12:13], s38
	v_cndmask_b32_e32 v9, v13, v9, vcc_lo
	v_cndmask_b32_e32 v8, v12, v8, vcc_lo
	v_add_f64 v[16:17], v[8:9], v[8:9]
	s_waitcnt vmcnt(0)
	v_add_f64 v[14:15], v[6:7], -v[10:11]
	v_cmp_ngt_f64_e64 s1, |v[14:15]|, |v[16:17]|
	s_and_b32 vcc_lo, exec_lo, s1
	s_cbranch_vccz .LBB9_129
; %bb.127:                              ;   in Loop: Header=BB9_102 Depth=2
	v_cmp_nlt_f64_e64 s1, |v[14:15]|, |v[16:17]|
	s_and_b32 vcc_lo, exec_lo, s1
	s_cbranch_vccz .LBB9_130
; %bb.128:                              ;   in Loop: Header=BB9_102 Depth=2
	v_mul_f64 v[12:13], |v[16:17]|, s[12:13]
	s_cbranch_execz .LBB9_131
	s_branch .LBB9_132
.LBB9_129:                              ;   in Loop: Header=BB9_102 Depth=2
                                        ; implicit-def: $vgpr12_vgpr13
	s_branch .LBB9_133
.LBB9_130:                              ;   in Loop: Header=BB9_102 Depth=2
                                        ; implicit-def: $vgpr12_vgpr13
.LBB9_131:                              ;   in Loop: Header=BB9_102 Depth=2
	v_and_b32_e32 v13, 0x7fffffff, v15
	v_mov_b32_e32 v12, v14
	v_and_b32_e32 v19, 0x7fffffff, v17
	v_mov_b32_e32 v18, v16
	v_div_scale_f64 v[20:21], null, v[18:19], v[18:19], v[12:13]
	v_div_scale_f64 v[12:13], vcc_lo, v[12:13], v[18:19], v[12:13]
	v_rcp_f64_e32 v[22:23], v[20:21]
	v_fma_f64 v[24:25], -v[20:21], v[22:23], 1.0
	v_fma_f64 v[22:23], v[22:23], v[24:25], v[22:23]
	v_fma_f64 v[24:25], -v[20:21], v[22:23], 1.0
	v_fma_f64 v[18:19], v[22:23], v[24:25], v[22:23]
	v_mul_f64 v[22:23], v[12:13], v[18:19]
	v_fma_f64 v[12:13], -v[20:21], v[22:23], v[12:13]
	v_div_fmas_f64 v[12:13], v[12:13], v[18:19], v[22:23]
	v_div_fixup_f64 v[12:13], v[12:13], |v[16:17]|, |v[14:15]|
	v_fma_f64 v[12:13], v[12:13], v[12:13], 1.0
	v_cmp_gt_f64_e32 vcc_lo, 0x10000000, v[12:13]
	s_and_b32 s1, vcc_lo, exec_lo
	s_cselect_b32 s1, 0x100, 0
	v_ldexp_f64 v[12:13], v[12:13], s1
	s_cselect_b32 s1, 0xffffff80, 0
	v_rsq_f64_e32 v[18:19], v[12:13]
	v_cmp_class_f64_e64 vcc_lo, v[12:13], 0x260
	v_mul_f64 v[20:21], v[12:13], v[18:19]
	v_mul_f64 v[18:19], v[18:19], 0.5
	v_fma_f64 v[22:23], -v[18:19], v[20:21], 0.5
	v_fma_f64 v[20:21], v[20:21], v[22:23], v[20:21]
	v_fma_f64 v[18:19], v[18:19], v[22:23], v[18:19]
	v_fma_f64 v[22:23], -v[20:21], v[20:21], v[12:13]
	v_fma_f64 v[20:21], v[22:23], v[18:19], v[20:21]
	v_fma_f64 v[22:23], -v[20:21], v[20:21], v[12:13]
	v_fma_f64 v[18:19], v[22:23], v[18:19], v[20:21]
	v_ldexp_f64 v[18:19], v[18:19], s1
	v_cndmask_b32_e32 v13, v19, v13, vcc_lo
	v_cndmask_b32_e32 v12, v18, v12, vcc_lo
	v_mul_f64 v[12:13], |v[16:17]|, v[12:13]
.LBB9_132:                              ;   in Loop: Header=BB9_102 Depth=2
	s_cbranch_execnz .LBB9_134
.LBB9_133:                              ;   in Loop: Header=BB9_102 Depth=2
	v_and_b32_e32 v13, 0x7fffffff, v17
	v_mov_b32_e32 v12, v16
	v_and_b32_e32 v19, 0x7fffffff, v15
	v_mov_b32_e32 v18, v14
	v_div_scale_f64 v[20:21], null, v[18:19], v[18:19], v[12:13]
	v_div_scale_f64 v[12:13], vcc_lo, v[12:13], v[18:19], v[12:13]
	v_rcp_f64_e32 v[22:23], v[20:21]
	v_fma_f64 v[24:25], -v[20:21], v[22:23], 1.0
	v_fma_f64 v[22:23], v[22:23], v[24:25], v[22:23]
	v_fma_f64 v[24:25], -v[20:21], v[22:23], 1.0
	v_fma_f64 v[18:19], v[22:23], v[24:25], v[22:23]
	v_mul_f64 v[22:23], v[12:13], v[18:19]
	v_fma_f64 v[12:13], -v[20:21], v[22:23], v[12:13]
	v_div_fmas_f64 v[12:13], v[12:13], v[18:19], v[22:23]
	v_div_fixup_f64 v[12:13], v[12:13], |v[14:15]|, |v[16:17]|
	v_fma_f64 v[12:13], v[12:13], v[12:13], 1.0
	v_cmp_gt_f64_e32 vcc_lo, 0x10000000, v[12:13]
	s_and_b32 s1, vcc_lo, exec_lo
	s_cselect_b32 s1, 0x100, 0
	v_ldexp_f64 v[12:13], v[12:13], s1
	s_cselect_b32 s1, 0xffffff80, 0
	v_rsq_f64_e32 v[16:17], v[12:13]
	v_cmp_class_f64_e64 vcc_lo, v[12:13], 0x260
	v_mul_f64 v[18:19], v[12:13], v[16:17]
	v_mul_f64 v[16:17], v[16:17], 0.5
	v_fma_f64 v[20:21], -v[16:17], v[18:19], 0.5
	v_fma_f64 v[18:19], v[18:19], v[20:21], v[18:19]
	v_fma_f64 v[16:17], v[16:17], v[20:21], v[16:17]
	v_fma_f64 v[20:21], -v[18:19], v[18:19], v[12:13]
	v_fma_f64 v[18:19], v[20:21], v[16:17], v[18:19]
	v_fma_f64 v[20:21], -v[18:19], v[18:19], v[12:13]
	v_fma_f64 v[16:17], v[20:21], v[16:17], v[18:19]
	v_ldexp_f64 v[16:17], v[16:17], s1
	v_cndmask_b32_e32 v13, v17, v13, vcc_lo
	v_cndmask_b32_e32 v12, v16, v12, vcc_lo
	v_mul_f64 v[12:13], |v[14:15]|, v[12:13]
.LBB9_134:                              ;   in Loop: Header=BB9_102 Depth=2
	v_add_f64 v[16:17], v[6:7], v[10:11]
	v_cmp_gt_f64_e64 vcc_lo, |v[6:7]|, |v[10:11]|
	v_cmp_ngt_f64_e64 s1, 0, v[16:17]
	v_cndmask_b32_e32 v15, v7, v11, vcc_lo
	v_cndmask_b32_e32 v14, v6, v10, vcc_lo
	;; [unrolled: 1-line block ×4, first 2 shown]
	s_and_b32 vcc_lo, exec_lo, s1
	s_cbranch_vccz .LBB9_137
; %bb.135:                              ;   in Loop: Header=BB9_102 Depth=2
	v_cmp_nlt_f64_e32 vcc_lo, 0, v[16:17]
	s_cbranch_vccz .LBB9_138
; %bb.136:                              ;   in Loop: Header=BB9_102 Depth=2
	v_mul_f64 v[10:11], v[12:13], 0.5
	v_mul_f64 v[18:19], v[12:13], -0.5
	s_cbranch_execz .LBB9_139
	s_branch .LBB9_140
.LBB9_137:                              ;   in Loop: Header=BB9_102 Depth=2
                                        ; implicit-def: $vgpr18_vgpr19
                                        ; implicit-def: $vgpr10_vgpr11
	s_branch .LBB9_141
.LBB9_138:                              ;   in Loop: Header=BB9_102 Depth=2
                                        ; implicit-def: $vgpr18_vgpr19
                                        ; implicit-def: $vgpr10_vgpr11
.LBB9_139:                              ;   in Loop: Header=BB9_102 Depth=2
	v_add_f64 v[10:11], v[16:17], v[12:13]
	v_mul_f64 v[10:11], v[10:11], 0.5
	v_div_scale_f64 v[18:19], null, v[10:11], v[10:11], v[6:7]
	v_div_scale_f64 v[20:21], null, v[10:11], v[10:11], v[8:9]
	v_div_scale_f64 v[30:31], vcc_lo, v[6:7], v[10:11], v[6:7]
	v_rcp_f64_e32 v[22:23], v[18:19]
	v_rcp_f64_e32 v[24:25], v[20:21]
	v_fma_f64 v[26:27], -v[18:19], v[22:23], 1.0
	v_fma_f64 v[28:29], -v[20:21], v[24:25], 1.0
	v_fma_f64 v[22:23], v[22:23], v[26:27], v[22:23]
	v_fma_f64 v[24:25], v[24:25], v[28:29], v[24:25]
	v_fma_f64 v[26:27], -v[18:19], v[22:23], 1.0
	v_fma_f64 v[28:29], -v[20:21], v[24:25], 1.0
	v_fma_f64 v[22:23], v[22:23], v[26:27], v[22:23]
	v_div_scale_f64 v[26:27], s1, v[8:9], v[10:11], v[8:9]
	v_fma_f64 v[24:25], v[24:25], v[28:29], v[24:25]
	v_mul_f64 v[28:29], v[30:31], v[22:23]
	v_mul_f64 v[32:33], v[26:27], v[24:25]
	v_fma_f64 v[18:19], -v[18:19], v[28:29], v[30:31]
	v_fma_f64 v[20:21], -v[20:21], v[32:33], v[26:27]
	v_div_fmas_f64 v[18:19], v[18:19], v[22:23], v[28:29]
	s_mov_b32 vcc_lo, s1
	v_div_fmas_f64 v[20:21], v[20:21], v[24:25], v[32:33]
	v_div_fixup_f64 v[18:19], v[18:19], v[10:11], v[6:7]
	v_div_fixup_f64 v[20:21], v[20:21], v[10:11], v[8:9]
	v_mul_f64 v[20:21], v[8:9], v[20:21]
	v_fma_f64 v[18:19], v[14:15], v[18:19], -v[20:21]
.LBB9_140:                              ;   in Loop: Header=BB9_102 Depth=2
	s_cbranch_execnz .LBB9_142
.LBB9_141:                              ;   in Loop: Header=BB9_102 Depth=2
	v_add_f64 v[10:11], v[16:17], -v[12:13]
	v_mul_f64 v[10:11], v[10:11], 0.5
	v_div_scale_f64 v[12:13], null, v[10:11], v[10:11], v[6:7]
	v_div_scale_f64 v[16:17], null, v[10:11], v[10:11], v[8:9]
	v_div_scale_f64 v[26:27], vcc_lo, v[6:7], v[10:11], v[6:7]
	v_rcp_f64_e32 v[18:19], v[12:13]
	v_rcp_f64_e32 v[20:21], v[16:17]
	v_fma_f64 v[22:23], -v[12:13], v[18:19], 1.0
	v_fma_f64 v[24:25], -v[16:17], v[20:21], 1.0
	v_fma_f64 v[18:19], v[18:19], v[22:23], v[18:19]
	v_fma_f64 v[20:21], v[20:21], v[24:25], v[20:21]
	v_fma_f64 v[22:23], -v[12:13], v[18:19], 1.0
	v_fma_f64 v[24:25], -v[16:17], v[20:21], 1.0
	v_fma_f64 v[18:19], v[18:19], v[22:23], v[18:19]
	v_div_scale_f64 v[22:23], s1, v[8:9], v[10:11], v[8:9]
	v_fma_f64 v[20:21], v[20:21], v[24:25], v[20:21]
	v_mul_f64 v[24:25], v[26:27], v[18:19]
	v_mul_f64 v[28:29], v[22:23], v[20:21]
	v_fma_f64 v[12:13], -v[12:13], v[24:25], v[26:27]
	v_fma_f64 v[16:17], -v[16:17], v[28:29], v[22:23]
	v_div_fmas_f64 v[12:13], v[12:13], v[18:19], v[24:25]
	s_mov_b32 vcc_lo, s1
	v_div_fmas_f64 v[16:17], v[16:17], v[20:21], v[28:29]
	v_div_fixup_f64 v[6:7], v[12:13], v[10:11], v[6:7]
	v_div_fixup_f64 v[16:17], v[16:17], v[10:11], v[8:9]
	v_mul_f64 v[8:9], v[8:9], v[16:17]
	v_fma_f64 v[18:19], v[14:15], v[6:7], -v[8:9]
.LBB9_142:                              ;   in Loop: Header=BB9_102 Depth=2
	v_mov_b32_e32 v3, v2
	global_store_dwordx2 v2, v[10:11], s[2:3]
	global_store_dwordx2 v2, v[18:19], s[36:37]
	s_add_i32 s30, s30, -2
	global_store_dwordx2 v2, v[2:3], s[34:35]
	s_cbranch_execz .LBB9_101
	s_branch .LBB9_147
.LBB9_143:                              ;   in Loop: Header=BB9_102 Depth=2
	v_mov_b32_e32 v14, v18
	v_mov_b32_e32 v15, v19
.LBB9_144:                              ;   in Loop: Header=BB9_102 Depth=2
	v_mov_b32_e32 v17, v11
	v_mov_b32_e32 v16, v10
.LBB9_145:                              ;   in Loop: Header=BB9_102 Depth=2
	v_mul_f64 v[10:11], v[16:17], v[12:13]
	v_add_f64 v[8:9], v[8:9], v[14:15]
	s_add_i32 s35, s65, 1
	s_mov_b32 s1, -1
	global_store_dwordx2 v2, v[10:11], s[36:37] offset:-8
	global_store_dwordx2 v2, v[8:9], s[2:3]
	s_and_b32 vcc_lo, exec_lo, s42
	s_cbranch_vccnz .LBB9_126
.LBB9_146:                              ;   in Loop: Header=BB9_102 Depth=2
	s_mov_b32 s65, s35
	s_and_b32 vcc_lo, exec_lo, s1
	s_cbranch_vccz .LBB9_101
.LBB9_147:                              ;   in Loop: Header=BB9_102 Depth=2
	s_cmp_lt_i32 s30, s25
	s_cselect_b32 s1, -1, 0
	s_cmp_ge_i32 s65, s52
	s_cselect_b32 s2, -1, 0
	s_or_b32 s31, s1, s2
	s_branch .LBB9_101
.LBB9_148:
	s_cmp_lt_i32 s33, 2
	s_cbranch_scc1 .LBB9_159
; %bb.149:
	s_load_dwordx2 s[0:1], s[4:5], 0x28
	s_lshl_b64 s[2:3], s[6:7], 2
	v_mov_b32_e32 v0, 0
	s_waitcnt lgkmcnt(0)
	s_add_u32 s0, s0, s2
	s_addc_u32 s1, s1, s3
	s_mov_b32 s2, 1
	s_branch .LBB9_151
.LBB9_150:                              ;   in Loop: Header=BB9_151 Depth=1
	s_add_i32 s2, s2, 1
	s_add_u32 s14, s14, 8
	s_addc_u32 s15, s15, 0
	s_cmp_lg_u32 s33, s2
	s_cbranch_scc0 .LBB9_153
.LBB9_151:                              ; =>This Inner Loop Header: Depth=1
	global_load_dwordx2 v[1:2], v0, s[14:15]
	s_waitcnt vmcnt(0)
	v_cmp_eq_f64_e32 vcc_lo, 0, v[1:2]
	s_cbranch_vccnz .LBB9_150
; %bb.152:                              ;   in Loop: Header=BB9_151 Depth=1
	global_load_dword v1, v0, s[0:1]
	s_waitcnt vmcnt(0)
	v_add_nc_u32_e32 v1, 1, v1
	global_store_dword v0, v1, s[0:1]
	s_branch .LBB9_150
.LBB9_153:
	s_add_u32 s0, s8, s10
	v_mov_b32_e32 v4, 0
	s_addc_u32 s1, s9, s11
	s_add_u32 s0, s0, 8
	s_addc_u32 s1, s1, 0
	s_mov_b32 s2, 1
	s_inst_prefetch 0x1
	s_branch .LBB9_155
	.p2align	6
.LBB9_154:                              ;   in Loop: Header=BB9_155 Depth=1
	s_add_i32 s2, s2, 1
	s_add_u32 s0, s0, 8
	s_addc_u32 s1, s1, 0
	s_cmp_lg_u32 s2, s33
	s_cbranch_scc0 .LBB9_159
.LBB9_155:                              ; =>This Loop Header: Depth=1
                                        ;     Child Loop BB9_156 Depth 2
	s_ashr_i32 s3, s2, 31
	s_mov_b64 s[8:9], s[0:1]
	s_lshl_b64 s[4:5], s[2:3], 3
	s_add_i32 s3, s2, -1
	s_add_u32 s4, s50, s4
	s_addc_u32 s5, s51, s5
	s_mov_b32 s7, s2
	global_load_dwordx2 v[0:1], v4, s[4:5] offset:-8
	s_mov_b32 s6, s3
	s_waitcnt vmcnt(0)
	v_mov_b32_e32 v3, v1
	v_mov_b32_e32 v2, v0
.LBB9_156:                              ;   Parent Loop BB9_155 Depth=1
                                        ; =>  This Inner Loop Header: Depth=2
	global_load_dwordx2 v[5:6], v4, s[8:9]
	s_waitcnt vmcnt(0)
	v_cmp_lt_f64_e32 vcc_lo, v[5:6], v[2:3]
	s_and_b32 s10, vcc_lo, exec_lo
	v_cndmask_b32_e32 v3, v3, v6, vcc_lo
	v_cndmask_b32_e32 v2, v2, v5, vcc_lo
	s_cselect_b32 s6, s7, s6
	s_add_i32 s7, s7, 1
	s_add_u32 s8, s8, 8
	s_addc_u32 s9, s9, 0
	s_cmp_eq_u32 s33, s7
	s_cbranch_scc0 .LBB9_156
; %bb.157:                              ;   in Loop: Header=BB9_155 Depth=1
	s_cmp_lg_u32 s6, s3
	s_cbranch_scc0 .LBB9_154
; %bb.158:                              ;   in Loop: Header=BB9_155 Depth=1
	s_ashr_i32 s7, s6, 31
	s_lshl_b64 s[6:7], s[6:7], 3
	s_add_u32 s6, s50, s6
	s_addc_u32 s7, s51, s7
	global_store_dwordx2 v4, v[0:1], s[6:7]
	global_store_dwordx2 v4, v[2:3], s[4:5] offset:-8
	s_branch .LBB9_154
.LBB9_159:
	s_inst_prefetch 0x2
	s_endpgm
	.section	.rodata,"a",@progbits
	.p2align	6, 0x0
	.amdhsa_kernel _ZN9rocsolver6v33100L12sterf_kernelIdEEviPT_lS3_lPiS4_iS2_S2_S2_
		.amdhsa_group_segment_fixed_size 0
		.amdhsa_private_segment_fixed_size 0
		.amdhsa_kernarg_size 88
		.amdhsa_user_sgpr_count 6
		.amdhsa_user_sgpr_private_segment_buffer 1
		.amdhsa_user_sgpr_dispatch_ptr 0
		.amdhsa_user_sgpr_queue_ptr 0
		.amdhsa_user_sgpr_kernarg_segment_ptr 1
		.amdhsa_user_sgpr_dispatch_id 0
		.amdhsa_user_sgpr_flat_scratch_init 0
		.amdhsa_user_sgpr_private_segment_size 0
		.amdhsa_wavefront_size32 1
		.amdhsa_uses_dynamic_stack 0
		.amdhsa_system_sgpr_private_segment_wavefront_offset 0
		.amdhsa_system_sgpr_workgroup_id_x 1
		.amdhsa_system_sgpr_workgroup_id_y 0
		.amdhsa_system_sgpr_workgroup_id_z 0
		.amdhsa_system_sgpr_workgroup_info 0
		.amdhsa_system_vgpr_workitem_id 0
		.amdhsa_next_free_vgpr 38
		.amdhsa_next_free_sgpr 67
		.amdhsa_reserve_vcc 1
		.amdhsa_reserve_flat_scratch 0
		.amdhsa_float_round_mode_32 0
		.amdhsa_float_round_mode_16_64 0
		.amdhsa_float_denorm_mode_32 3
		.amdhsa_float_denorm_mode_16_64 3
		.amdhsa_dx10_clamp 1
		.amdhsa_ieee_mode 1
		.amdhsa_fp16_overflow 0
		.amdhsa_workgroup_processor_mode 1
		.amdhsa_memory_ordered 1
		.amdhsa_forward_progress 1
		.amdhsa_shared_vgpr_count 0
		.amdhsa_exception_fp_ieee_invalid_op 0
		.amdhsa_exception_fp_denorm_src 0
		.amdhsa_exception_fp_ieee_div_zero 0
		.amdhsa_exception_fp_ieee_overflow 0
		.amdhsa_exception_fp_ieee_underflow 0
		.amdhsa_exception_fp_ieee_inexact 0
		.amdhsa_exception_int_div_zero 0
	.end_amdhsa_kernel
	.section	.text._ZN9rocsolver6v33100L12sterf_kernelIdEEviPT_lS3_lPiS4_iS2_S2_S2_,"axG",@progbits,_ZN9rocsolver6v33100L12sterf_kernelIdEEviPT_lS3_lPiS4_iS2_S2_S2_,comdat
.Lfunc_end9:
	.size	_ZN9rocsolver6v33100L12sterf_kernelIdEEviPT_lS3_lPiS4_iS2_S2_S2_, .Lfunc_end9-_ZN9rocsolver6v33100L12sterf_kernelIdEEviPT_lS3_lPiS4_iS2_S2_S2_
                                        ; -- End function
	.set _ZN9rocsolver6v33100L12sterf_kernelIdEEviPT_lS3_lPiS4_iS2_S2_S2_.num_vgpr, 38
	.set _ZN9rocsolver6v33100L12sterf_kernelIdEEviPT_lS3_lPiS4_iS2_S2_S2_.num_agpr, 0
	.set _ZN9rocsolver6v33100L12sterf_kernelIdEEviPT_lS3_lPiS4_iS2_S2_S2_.numbered_sgpr, 67
	.set _ZN9rocsolver6v33100L12sterf_kernelIdEEviPT_lS3_lPiS4_iS2_S2_S2_.num_named_barrier, 0
	.set _ZN9rocsolver6v33100L12sterf_kernelIdEEviPT_lS3_lPiS4_iS2_S2_S2_.private_seg_size, 0
	.set _ZN9rocsolver6v33100L12sterf_kernelIdEEviPT_lS3_lPiS4_iS2_S2_S2_.uses_vcc, 1
	.set _ZN9rocsolver6v33100L12sterf_kernelIdEEviPT_lS3_lPiS4_iS2_S2_S2_.uses_flat_scratch, 0
	.set _ZN9rocsolver6v33100L12sterf_kernelIdEEviPT_lS3_lPiS4_iS2_S2_S2_.has_dyn_sized_stack, 0
	.set _ZN9rocsolver6v33100L12sterf_kernelIdEEviPT_lS3_lPiS4_iS2_S2_S2_.has_recursion, 0
	.set _ZN9rocsolver6v33100L12sterf_kernelIdEEviPT_lS3_lPiS4_iS2_S2_S2_.has_indirect_call, 0
	.section	.AMDGPU.csdata,"",@progbits
; Kernel info:
; codeLenInByte = 9200
; TotalNumSgprs: 69
; NumVgprs: 38
; ScratchSize: 0
; MemoryBound: 0
; FloatMode: 240
; IeeeMode: 1
; LDSByteSize: 0 bytes/workgroup (compile time only)
; SGPRBlocks: 0
; VGPRBlocks: 4
; NumSGPRsForWavesPerEU: 69
; NumVGPRsForWavesPerEU: 38
; Occupancy: 16
; WaveLimiterHint : 0
; COMPUTE_PGM_RSRC2:SCRATCH_EN: 0
; COMPUTE_PGM_RSRC2:USER_SGPR: 6
; COMPUTE_PGM_RSRC2:TRAP_HANDLER: 0
; COMPUTE_PGM_RSRC2:TGID_X_EN: 1
; COMPUTE_PGM_RSRC2:TGID_Y_EN: 0
; COMPUTE_PGM_RSRC2:TGID_Z_EN: 0
; COMPUTE_PGM_RSRC2:TIDIG_COMP_CNT: 0
	.section	.text._ZN9rocsolver6v33100L11lasr_kernelIddPdiEEv13rocblas_side_14rocblas_pivot_15rocblas_direct_T2_S6_PT0_lS8_lT1_lS6_lS6_,"axG",@progbits,_ZN9rocsolver6v33100L11lasr_kernelIddPdiEEv13rocblas_side_14rocblas_pivot_15rocblas_direct_T2_S6_PT0_lS8_lT1_lS6_lS6_,comdat
	.globl	_ZN9rocsolver6v33100L11lasr_kernelIddPdiEEv13rocblas_side_14rocblas_pivot_15rocblas_direct_T2_S6_PT0_lS8_lT1_lS6_lS6_ ; -- Begin function _ZN9rocsolver6v33100L11lasr_kernelIddPdiEEv13rocblas_side_14rocblas_pivot_15rocblas_direct_T2_S6_PT0_lS8_lT1_lS6_lS6_
	.p2align	8
	.type	_ZN9rocsolver6v33100L11lasr_kernelIddPdiEEv13rocblas_side_14rocblas_pivot_15rocblas_direct_T2_S6_PT0_lS8_lT1_lS6_lS6_,@function
_ZN9rocsolver6v33100L11lasr_kernelIddPdiEEv13rocblas_side_14rocblas_pivot_15rocblas_direct_T2_S6_PT0_lS8_lT1_lS6_lS6_: ; @_ZN9rocsolver6v33100L11lasr_kernelIddPdiEEv13rocblas_side_14rocblas_pivot_15rocblas_direct_T2_S6_PT0_lS8_lT1_lS6_lS6_
; %bb.0:
	s_load_dword s33, s[4:5], 0x58
	s_waitcnt lgkmcnt(0)
	s_cmp_ge_u32 s7, s33
	s_cbranch_scc1 .LBB10_108
; %bb.1:
	s_clause 0x6
	s_load_dword s20, s[4:5], 0x48
	s_load_dwordx4 s[16:19], s[4:5], 0x38
	s_load_dwordx2 s[22:23], s[4:5], 0x68
	s_load_dwordx4 s[0:3], s[4:5], 0x0
	s_load_dword s24, s[4:5], 0x60
	s_load_dword s56, s[4:5], 0x10
	s_load_dwordx8 s[8:15], s[4:5], 0x18
	v_mov_b32_e32 v36, 0
	s_waitcnt lgkmcnt(0)
	s_ashr_i32 s21, s20, 31
	s_lshl_b64 s[38:39], s[18:19], 3
	s_and_b32 s25, s23, 0xffff
	s_add_u32 s23, s16, s38
	s_addc_u32 s57, s17, s39
	s_cmpk_eq_i32 s0, 0x8d
	s_load_dwordx2 s[18:19], s[4:5], 0x50
	s_cselect_b32 s26, -1, 0
	s_cmpk_eq_i32 s0, 0x8e
	v_mad_u64_u32 v[0:1], null, s6, s25, v[0:1]
	s_cselect_b32 s27, -1, 0
	s_cmpk_eq_i32 s1, 0x119
	s_mul_i32 s4, s24, s25
	s_cselect_b32 s0, -1, 0
	s_cmpk_eq_i32 s1, 0x11b
	s_cselect_b32 s28, -1, 0
	s_cmpk_eq_i32 s1, 0x11a
	v_ashrrev_i32_e32 v1, 31, v0
	s_cselect_b32 s1, -1, 0
	s_cmpk_eq_i32 s2, 0xab
	v_mad_i64_i32 v[3:4], null, s20, v0, 0
	s_cselect_b32 s5, -1, 0
	s_cmpk_eq_i32 s2, 0xac
	v_lshlrev_b64 v[1:2], 3, v[0:1]
	s_cselect_b32 s2, -1, 0
	s_and_b32 s24, s26, s1
	s_and_b32 s6, s26, s0
	s_and_b32 s25, s26, s28
	s_and_b32 s30, s24, s5
	s_and_b32 s24, s24, s2
	s_and_b32 s0, s27, s0
	s_and_b32 s31, s25, s5
	s_xor_b32 s60, s24, -1
	s_and_b32 s24, s25, s2
	s_and_b32 s25, s0, s5
	;; [unrolled: 1-line block ×4, first 2 shown]
	s_xor_b32 s64, s0, -1
	v_cmp_gt_i32_e64 s0, s3, v0
	s_xor_b32 s62, s24, -1
	s_and_b32 s24, s1, s5
	s_and_b32 s1, s1, s2
	s_xor_b32 s65, s24, -1
	s_and_b32 s24, s27, s28
	s_and_b32 s26, s6, s5
	;; [unrolled: 1-line block ×3, first 2 shown]
	s_xor_b32 s66, s1, -1
	s_and_b32 s1, s24, s5
	s_and_b32 s2, s2, s0
	s_xor_b32 s6, s26, -1
	s_xor_b32 s58, s29, -1
	s_xor_b32 s59, s30, -1
	s_xor_b32 s61, s31, -1
	s_xor_b32 s63, s25, -1
	s_xor_b32 s67, s1, -1
	s_and_b32 s68, s24, s2
	s_add_i32 s69, s56, -1
	s_add_i32 s24, s56, -2
	s_cmp_gt_i32 s56, 1
	s_mov_b32 s25, 0
	s_cselect_b32 s70, -1, 0
	s_ashr_i32 s29, s3, 31
	s_add_i32 s40, s3, -2
	s_cmp_gt_i32 s3, 1
	s_mul_i32 s2, s21, s24
	s_cselect_b32 s71, -1, 0
	s_lshl_b64 s[30:31], s[24:25], 3
	s_mul_hi_u32 s5, s20, s24
	s_add_u32 s72, s8, s30
	s_addc_u32 s73, s9, s31
	s_lshl_b64 s[10:11], s[10:11], 3
	s_add_u32 s74, s12, s30
	s_addc_u32 s75, s13, s31
	s_add_i32 s31, s5, s2
	s_mul_i32 s30, s20, s24
	s_lshl_b64 s[14:15], s[14:15], 3
	s_lshl_b64 s[30:31], s[30:31], 3
	s_mul_i32 s26, s20, s69
	s_add_u32 s2, s30, s38
	s_addc_u32 s5, s31, s39
	s_add_u32 s2, s16, s2
	s_addc_u32 s5, s17, s5
	v_add_co_u32 v18, vcc_lo, s2, v1
	v_add_co_ci_u32_e64 v19, null, s5, v2, vcc_lo
	s_ashr_i32 s5, s4, 31
	s_lshl_b64 s[34:35], s[20:21], 3
	s_waitcnt lgkmcnt(0)
	s_lshl_b64 s[30:31], s[18:19], 3
	s_lshl_b64 s[36:37], s[4:5], 3
	s_mul_i32 s2, s21, s69
	s_mul_hi_u32 s24, s20, s69
	s_sub_u32 s5, 0, s34
	s_subb_u32 s21, 0, s35
	s_add_i32 s43, s24, s2
	s_mov_b32 s42, s26
	s_add_i32 s76, s56, 1
	s_lshl_b64 s[42:43], s[42:43], 3
	v_add_co_u32 v20, vcc_lo, s23, v1
	s_add_u32 s2, s42, s38
	s_addc_u32 s24, s43, s39
	s_add_u32 s2, s16, s2
	v_add_co_ci_u32_e64 v21, null, s57, v2, vcc_lo
	s_addc_u32 s24, s17, s24
	v_add_co_u32 v22, vcc_lo, s2, v1
	s_add_u32 s2, s38, s34
	v_add_co_ci_u32_e64 v23, null, s24, v2, vcc_lo
	s_addc_u32 s24, s39, s35
	s_add_u32 s2, s16, s2
	s_addc_u32 s24, s17, s24
	v_add_co_u32 v24, vcc_lo, s2, v1
	v_add_co_ci_u32_e64 v25, null, s24, v2, vcc_lo
	v_lshlrev_b64 v[1:2], 3, v[3:4]
	s_mov_b32 s41, s25
	s_add_i32 s24, s3, -1
	s_lshl_b64 s[40:41], s[40:41], 3
	v_cmp_gt_i32_e64 s1, s56, v0
	s_add_u32 s77, s8, s40
	s_addc_u32 s78, s9, s41
	v_add_co_u32 v1, vcc_lo, v1, s38
	s_add_u32 s79, s12, s40
	s_addc_u32 s80, s13, s41
	v_add_co_ci_u32_e64 v2, null, s39, v2, vcc_lo
	s_add_u32 s2, s16, s40
	s_addc_u32 s27, s17, s41
	s_mul_hi_i32 s39, s20, s4
	s_mul_i32 s38, s20, s4
	v_add_co_u32 v26, vcc_lo, s2, v1
	s_lshl_b64 s[40:41], s[24:25], 3
	v_add_co_ci_u32_e64 v27, null, s27, v2, vcc_lo
	s_lshl_b64 s[38:39], s[38:39], 3
	v_add_co_u32 v28, vcc_lo, s16, v1
	s_add_i32 s25, s3, 1
	s_add_u32 s2, s16, s40
	v_add_co_ci_u32_e64 v29, null, s17, v2, vcc_lo
	s_addc_u32 s16, s17, s41
	v_add_co_u32 v30, vcc_lo, s2, v1
	v_add_co_ci_u32_e64 v31, null, s16, v2, vcc_lo
	v_add_co_u32 v32, vcc_lo, v28, 8
	v_add_co_ci_u32_e64 v33, null, 0, v29, vcc_lo
	v_add_co_u32 v34, vcc_lo, v26, 8
	v_add_co_ci_u32_e64 v35, null, 0, v27, vcc_lo
	s_mul_hi_i32 s27, s20, s69
	s_mov_b32 s28, s3
	s_branch .LBB10_4
.LBB10_2:                               ;   in Loop: Header=BB10_4 Depth=1
	s_or_b32 exec_lo, exec_lo, s46
.LBB10_3:                               ;   in Loop: Header=BB10_4 Depth=1
	s_add_i32 s7, s7, s22
	s_cmp_ge_u32 s7, s33
	s_cbranch_scc1 .LBB10_108
.LBB10_4:                               ; =>This Loop Header: Depth=1
                                        ;     Child Loop BB10_19 Depth 2
                                        ;       Child Loop BB10_20 Depth 3
                                        ;     Child Loop BB10_26 Depth 2
                                        ;       Child Loop BB10_27 Depth 3
	;; [unrolled: 2-line block ×12, first 2 shown]
	s_mul_i32 s2, s31, s7
	s_mul_hi_u32 s16, s30, s7
	s_mul_hi_u32 s17, s10, s7
	s_add_i32 s83, s16, s2
	s_mul_i32 s16, s11, s7
	s_mul_i32 s2, s10, s7
	s_add_i32 s47, s17, s16
	s_mul_i32 s40, s15, s7
	s_mul_hi_u32 s41, s14, s7
	s_add_u32 s16, s8, s2
	s_mul_i32 s48, s14, s7
	s_addc_u32 s17, s9, s47
	s_add_i32 s49, s41, s40
	s_mul_i32 s42, s19, s7
	s_mul_hi_u32 s43, s18, s7
	s_mul_i32 s84, s30, s7
	s_add_u32 s40, s12, s48
	s_addc_u32 s41, s13, s49
	s_add_i32 s43, s43, s42
	s_mul_i32 s42, s18, s7
	v_add_co_u32 v1, vcc_lo, v32, s84
	s_lshl_b64 s[42:43], s[42:43], 3
	v_add_co_ci_u32_e64 v2, null, s83, v33, vcc_lo
	s_add_u32 s81, s23, s42
	s_addc_u32 s82, s57, s43
	s_and_b32 vcc_lo, exec_lo, s6
	s_mov_b32 s42, -1
	s_cbranch_vccnz .LBB10_6
; %bb.5:                                ;   in Loop: Header=BB10_4 Depth=1
	s_andn2_b32 vcc_lo, exec_lo, s42
	s_cbranch_vccnz .LBB10_3
	s_branch .LBB10_103
.LBB10_6:                               ;   in Loop: Header=BB10_4 Depth=1
	s_add_u32 s42, s77, s2
	s_addc_u32 s43, s78, s47
	s_add_u32 s44, s79, s48
	s_addc_u32 s45, s80, s49
	s_and_b32 vcc_lo, exec_lo, s58
	s_mov_b32 s46, -1
	s_cbranch_vccz .LBB10_95
; %bb.7:                                ;   in Loop: Header=BB10_4 Depth=1
	s_and_b32 vcc_lo, exec_lo, s59
	s_cbranch_vccz .LBB10_87
; %bb.8:                                ;   in Loop: Header=BB10_4 Depth=1
	s_and_b32 vcc_lo, exec_lo, s60
	;; [unrolled: 3-line block ×3, first 2 shown]
	s_cbranch_vccz .LBB10_71
; %bb.10:                               ;   in Loop: Header=BB10_4 Depth=1
	s_and_b32 vcc_lo, exec_lo, s62
	s_cbranch_vccz .LBB10_63
; %bb.11:                               ;   in Loop: Header=BB10_4 Depth=1
	v_add_co_u32 v3, vcc_lo, v20, s84
	v_add_co_ci_u32_e64 v4, null, s83, v21, vcc_lo
	s_and_b32 vcc_lo, exec_lo, s63
	s_cbranch_vccz .LBB10_55
; %bb.12:                               ;   in Loop: Header=BB10_4 Depth=1
	v_add_co_u32 v5, vcc_lo, v22, s84
	v_add_co_ci_u32_e64 v6, null, s83, v23, vcc_lo
	v_add_co_u32 v7, vcc_lo, v18, s84
	s_add_u32 s46, s72, s2
	v_add_co_ci_u32_e64 v8, null, s83, v19, vcc_lo
	s_addc_u32 s47, s73, s47
	s_add_u32 s48, s74, s48
	s_addc_u32 s49, s75, s49
	s_and_b32 vcc_lo, exec_lo, s64
	s_mov_b32 s2, -1
	s_cbranch_vccz .LBB10_46
; %bb.13:                               ;   in Loop: Header=BB10_4 Depth=1
	s_and_b32 vcc_lo, exec_lo, s65
	s_cbranch_vccz .LBB10_38
; %bb.14:                               ;   in Loop: Header=BB10_4 Depth=1
	s_and_b32 vcc_lo, exec_lo, s66
	;; [unrolled: 3-line block ×3, first 2 shown]
	s_cbranch_vccz .LBB10_22
; %bb.16:                               ;   in Loop: Header=BB10_4 Depth=1
	s_and_saveexec_b32 s54, s68
	s_cbranch_execz .LBB10_21
; %bb.17:                               ;   in Loop: Header=BB10_4 Depth=1
	v_mov_b32_e32 v10, v8
	s_lshl_b64 s[50:51], s[26:27], 3
	v_mov_b32_e32 v9, v7
	v_mov_b32_e32 v11, v0
	s_add_u32 s55, s81, s50
	s_addc_u32 s85, s82, s51
	s_mov_b32 s86, 0
	s_branch .LBB10_19
.LBB10_18:                              ;   in Loop: Header=BB10_19 Depth=2
	v_add_nc_u32_e32 v11, s4, v11
	v_add_co_u32 v9, s2, v9, s36
	v_add_co_ci_u32_e64 v10, null, s37, v10, s2
	v_cmp_le_i32_e32 vcc_lo, s3, v11
	s_waitcnt vmcnt(0)
	global_store_dwordx2 v[12:13], v[14:15], off
	s_or_b32 s86, vcc_lo, s86
	s_andn2_b32 exec_lo, exec_lo, s86
	s_cbranch_execz .LBB10_21
.LBB10_19:                              ;   Parent Loop BB10_4 Depth=1
                                        ; =>  This Loop Header: Depth=2
                                        ;       Child Loop BB10_20 Depth 3
	v_ashrrev_i32_e32 v12, 31, v11
	v_mov_b32_e32 v17, v10
	v_mov_b32_e32 v16, v9
	s_mov_b64 s[50:51], s[48:49]
	s_mov_b64 s[52:53], s[46:47]
	v_lshlrev_b64 v[12:13], 3, v[11:12]
	s_mov_b32 s2, s69
	v_add_co_u32 v12, vcc_lo, s55, v12
	v_add_co_ci_u32_e64 v13, null, s85, v13, vcc_lo
	s_andn2_b32 vcc_lo, exec_lo, s70
	global_load_dwordx2 v[14:15], v[12:13], off
	s_cbranch_vccnz .LBB10_18
	.p2align	6
.LBB10_20:                              ;   Parent Loop BB10_4 Depth=1
                                        ;     Parent Loop BB10_19 Depth=2
                                        ; =>    This Inner Loop Header: Depth=3
	global_load_dwordx2 v[37:38], v[16:17], off
	s_clause 0x1
	global_load_dwordx2 v[39:40], v36, s[52:53]
	global_load_dwordx2 v[41:42], v36, s[50:51]
	s_add_i32 s2, s2, -1
	s_add_u32 s52, s52, -8
	s_addc_u32 s53, s53, -1
	s_add_u32 s50, s50, -8
	s_addc_u32 s51, s51, -1
	s_cmp_eq_u32 s2, 0
	s_waitcnt vmcnt(1)
	v_mul_f64 v[43:44], v[39:40], v[37:38]
	s_waitcnt vmcnt(0)
	v_mul_f64 v[37:38], v[41:42], v[37:38]
	v_fma_f64 v[41:42], v[14:15], v[41:42], v[43:44]
	v_fma_f64 v[14:15], v[14:15], v[39:40], -v[37:38]
	global_store_dwordx2 v[16:17], v[41:42], off
	v_add_co_u32 v16, vcc_lo, v16, s5
	v_add_co_ci_u32_e64 v17, null, s21, v17, vcc_lo
	s_cbranch_scc0 .LBB10_20
	s_branch .LBB10_18
.LBB10_21:                              ;   in Loop: Header=BB10_4 Depth=1
	s_or_b32 exec_lo, exec_lo, s54
	s_mov_b32 s2, 0
.LBB10_22:                              ;   in Loop: Header=BB10_4 Depth=1
	s_andn2_b32 vcc_lo, exec_lo, s2
	s_cbranch_vccnz .LBB10_29
; %bb.23:                               ;   in Loop: Header=BB10_4 Depth=1
	s_and_saveexec_b32 s54, s0
	s_cbranch_execz .LBB10_28
; %bb.24:                               ;   in Loop: Header=BB10_4 Depth=1
	v_mov_b32_e32 v10, v4
	s_lshl_b64 s[50:51], s[26:27], 3
	v_mov_b32_e32 v9, v3
	v_mov_b32_e32 v11, v0
	s_add_u32 s55, s81, s50
	s_addc_u32 s85, s82, s51
	s_mov_b32 s86, 0
	s_branch .LBB10_26
.LBB10_25:                              ;   in Loop: Header=BB10_26 Depth=2
	v_add_nc_u32_e32 v11, s4, v11
	v_add_co_u32 v9, s2, v9, s36
	v_add_co_ci_u32_e64 v10, null, s37, v10, s2
	v_cmp_le_i32_e32 vcc_lo, s3, v11
	s_waitcnt vmcnt(0)
	global_store_dwordx2 v[12:13], v[14:15], off
	s_or_b32 s86, vcc_lo, s86
	s_andn2_b32 exec_lo, exec_lo, s86
	s_cbranch_execz .LBB10_28
.LBB10_26:                              ;   Parent Loop BB10_4 Depth=1
                                        ; =>  This Loop Header: Depth=2
                                        ;       Child Loop BB10_27 Depth 3
	v_ashrrev_i32_e32 v12, 31, v11
	v_mov_b32_e32 v17, v10
	v_mov_b32_e32 v16, v9
	s_mov_b64 s[50:51], s[40:41]
	s_mov_b64 s[52:53], s[16:17]
	v_lshlrev_b64 v[12:13], 3, v[11:12]
	s_mov_b32 s2, s69
	v_add_co_u32 v12, vcc_lo, s55, v12
	v_add_co_ci_u32_e64 v13, null, s85, v13, vcc_lo
	s_andn2_b32 vcc_lo, exec_lo, s70
	global_load_dwordx2 v[14:15], v[12:13], off
	s_cbranch_vccnz .LBB10_25
	.p2align	6
.LBB10_27:                              ;   Parent Loop BB10_4 Depth=1
                                        ;     Parent Loop BB10_26 Depth=2
                                        ; =>    This Inner Loop Header: Depth=3
	global_load_dwordx2 v[37:38], v[16:17], off
	s_clause 0x1
	global_load_dwordx2 v[39:40], v36, s[52:53]
	global_load_dwordx2 v[41:42], v36, s[50:51]
	s_add_i32 s2, s2, -1
	s_add_u32 s52, s52, 8
	s_addc_u32 s53, s53, 0
	s_add_u32 s50, s50, 8
	s_addc_u32 s51, s51, 0
	s_cmp_eq_u32 s2, 0
	s_waitcnt vmcnt(1)
	v_mul_f64 v[43:44], v[39:40], v[37:38]
	s_waitcnt vmcnt(0)
	v_mul_f64 v[37:38], v[41:42], v[37:38]
	v_fma_f64 v[41:42], v[14:15], v[41:42], v[43:44]
	v_fma_f64 v[14:15], v[14:15], v[39:40], -v[37:38]
	global_store_dwordx2 v[16:17], v[41:42], off
	v_add_co_u32 v16, vcc_lo, v16, s34
	v_add_co_ci_u32_e64 v17, null, s35, v17, vcc_lo
	s_cbranch_scc0 .LBB10_27
	s_branch .LBB10_25
.LBB10_28:                              ;   in Loop: Header=BB10_4 Depth=1
	s_or_b32 exec_lo, exec_lo, s54
.LBB10_29:                              ;   in Loop: Header=BB10_4 Depth=1
	s_mov_b32 s2, 0
.LBB10_30:                              ;   in Loop: Header=BB10_4 Depth=1
	s_andn2_b32 vcc_lo, exec_lo, s2
	s_cbranch_vccnz .LBB10_37
; %bb.31:                               ;   in Loop: Header=BB10_4 Depth=1
	s_and_saveexec_b32 s54, s0
	s_cbranch_execz .LBB10_36
; %bb.32:                               ;   in Loop: Header=BB10_4 Depth=1
	v_mov_b32_e32 v10, v6
	v_mov_b32_e32 v9, v5
	;; [unrolled: 1-line block ×3, first 2 shown]
	s_mov_b32 s55, 0
	s_branch .LBB10_34
.LBB10_33:                              ;   in Loop: Header=BB10_34 Depth=2
	v_add_nc_u32_e32 v11, s4, v11
	v_add_co_u32 v9, s2, v9, s36
	v_add_co_ci_u32_e64 v10, null, s37, v10, s2
	v_cmp_le_i32_e32 vcc_lo, s3, v11
	s_waitcnt vmcnt(0)
	global_store_dwordx2 v[12:13], v[14:15], off
	s_or_b32 s55, vcc_lo, s55
	s_andn2_b32 exec_lo, exec_lo, s55
	s_cbranch_execz .LBB10_36
.LBB10_34:                              ;   Parent Loop BB10_4 Depth=1
                                        ; =>  This Loop Header: Depth=2
                                        ;       Child Loop BB10_35 Depth 3
	v_ashrrev_i32_e32 v12, 31, v11
	v_mov_b32_e32 v17, v10
	v_mov_b32_e32 v16, v9
	s_mov_b64 s[50:51], s[48:49]
	s_mov_b64 s[52:53], s[46:47]
	v_lshlrev_b64 v[12:13], 3, v[11:12]
	s_mov_b32 s2, s76
	v_add_co_u32 v12, vcc_lo, s81, v12
	v_add_co_ci_u32_e64 v13, null, s82, v13, vcc_lo
	s_andn2_b32 vcc_lo, exec_lo, s70
	global_load_dwordx2 v[14:15], v[12:13], off
	s_cbranch_vccnz .LBB10_33
	.p2align	6
.LBB10_35:                              ;   Parent Loop BB10_4 Depth=1
                                        ;     Parent Loop BB10_34 Depth=2
                                        ; =>    This Inner Loop Header: Depth=3
	s_clause 0x1
	global_load_dwordx2 v[37:38], v36, s[50:51]
	global_load_dwordx2 v[39:40], v36, s[52:53]
	global_load_dwordx2 v[41:42], v[16:17], off
	s_add_i32 s2, s2, -1
	s_add_u32 s52, s52, -8
	s_addc_u32 s53, s53, -1
	s_add_u32 s50, s50, -8
	s_addc_u32 s51, s51, -1
	s_cmp_lt_u32 s2, 3
	s_waitcnt vmcnt(2)
	v_mul_f64 v[43:44], v[14:15], v[37:38]
	s_waitcnt vmcnt(0)
	v_mul_f64 v[37:38], v[37:38], v[41:42]
	v_fma_f64 v[41:42], v[39:40], v[41:42], -v[43:44]
	v_fma_f64 v[14:15], v[14:15], v[39:40], v[37:38]
	global_store_dwordx2 v[16:17], v[41:42], off
	v_add_co_u32 v16, vcc_lo, v16, s5
	v_add_co_ci_u32_e64 v17, null, s21, v17, vcc_lo
	s_cbranch_scc0 .LBB10_35
	s_branch .LBB10_33
.LBB10_36:                              ;   in Loop: Header=BB10_4 Depth=1
	s_or_b32 exec_lo, exec_lo, s54
.LBB10_37:                              ;   in Loop: Header=BB10_4 Depth=1
	s_mov_b32 s2, 0
.LBB10_38:                              ;   in Loop: Header=BB10_4 Depth=1
	s_andn2_b32 vcc_lo, exec_lo, s2
	s_cbranch_vccnz .LBB10_45
; %bb.39:                               ;   in Loop: Header=BB10_4 Depth=1
	s_and_saveexec_b32 s54, s0
	s_cbranch_execz .LBB10_44
; %bb.40:                               ;   in Loop: Header=BB10_4 Depth=1
	v_add_co_u32 v9, vcc_lo, v24, s84
	v_add_co_ci_u32_e64 v10, null, s83, v25, vcc_lo
	v_mov_b32_e32 v11, v0
	s_mov_b32 s55, 0
	s_branch .LBB10_42
.LBB10_41:                              ;   in Loop: Header=BB10_42 Depth=2
	v_add_nc_u32_e32 v11, s4, v11
	v_add_co_u32 v9, s2, v9, s36
	v_add_co_ci_u32_e64 v10, null, s37, v10, s2
	v_cmp_le_i32_e32 vcc_lo, s3, v11
	s_waitcnt vmcnt(0)
	global_store_dwordx2 v[12:13], v[14:15], off
	s_or_b32 s55, vcc_lo, s55
	s_andn2_b32 exec_lo, exec_lo, s55
	s_cbranch_execz .LBB10_44
.LBB10_42:                              ;   Parent Loop BB10_4 Depth=1
                                        ; =>  This Loop Header: Depth=2
                                        ;       Child Loop BB10_43 Depth 3
	v_ashrrev_i32_e32 v12, 31, v11
	v_mov_b32_e32 v17, v10
	v_mov_b32_e32 v16, v9
	s_mov_b32 s2, s69
	s_mov_b64 s[50:51], s[16:17]
	v_lshlrev_b64 v[12:13], 3, v[11:12]
	s_mov_b64 s[52:53], s[40:41]
	v_add_co_u32 v12, vcc_lo, s81, v12
	v_add_co_ci_u32_e64 v13, null, s82, v13, vcc_lo
	s_andn2_b32 vcc_lo, exec_lo, s70
	global_load_dwordx2 v[14:15], v[12:13], off
	s_cbranch_vccnz .LBB10_41
	.p2align	6
.LBB10_43:                              ;   Parent Loop BB10_4 Depth=1
                                        ;     Parent Loop BB10_42 Depth=2
                                        ; =>    This Inner Loop Header: Depth=3
	s_clause 0x1
	global_load_dwordx2 v[37:38], v36, s[52:53]
	global_load_dwordx2 v[39:40], v36, s[50:51]
	global_load_dwordx2 v[41:42], v[16:17], off
	s_add_u32 s52, s52, 8
	s_addc_u32 s53, s53, 0
	s_add_u32 s50, s50, 8
	s_addc_u32 s51, s51, 0
	s_add_i32 s2, s2, -1
	s_cmp_eq_u32 s2, 0
	s_waitcnt vmcnt(2)
	v_mul_f64 v[43:44], v[14:15], v[37:38]
	s_waitcnt vmcnt(0)
	v_mul_f64 v[37:38], v[37:38], v[41:42]
	v_fma_f64 v[41:42], v[39:40], v[41:42], -v[43:44]
	v_fma_f64 v[14:15], v[14:15], v[39:40], v[37:38]
	global_store_dwordx2 v[16:17], v[41:42], off
	v_add_co_u32 v16, vcc_lo, v16, s34
	v_add_co_ci_u32_e64 v17, null, s35, v17, vcc_lo
	s_cbranch_scc0 .LBB10_43
	s_branch .LBB10_41
.LBB10_44:                              ;   in Loop: Header=BB10_4 Depth=1
	s_or_b32 exec_lo, exec_lo, s54
.LBB10_45:                              ;   in Loop: Header=BB10_4 Depth=1
	s_mov_b32 s2, 0
.LBB10_46:                              ;   in Loop: Header=BB10_4 Depth=1
	s_andn2_b32 vcc_lo, exec_lo, s2
	s_cbranch_vccnz .LBB10_54
; %bb.47:                               ;   in Loop: Header=BB10_4 Depth=1
	s_and_saveexec_b32 s85, s0
	s_cbranch_execz .LBB10_53
; %bb.48:                               ;   in Loop: Header=BB10_4 Depth=1
	s_lshl_b64 s[50:51], s[26:27], 3
	v_mov_b32_e32 v9, v0
	s_add_u32 s86, s81, s50
	s_addc_u32 s87, s82, s51
	s_mov_b32 s88, 0
	s_branch .LBB10_50
.LBB10_49:                              ;   in Loop: Header=BB10_50 Depth=2
	s_inst_prefetch 0x2
	v_add_nc_u32_e32 v9, s4, v9
	v_add_co_u32 v12, vcc_lo, s81, v12
	v_add_co_ci_u32_e64 v13, null, s82, v13, vcc_lo
	v_add_co_u32 v5, vcc_lo, v5, s36
	v_add_co_ci_u32_e64 v6, null, s37, v6, vcc_lo
	v_cmp_le_i32_e32 vcc_lo, s3, v9
	v_add_co_u32 v7, s2, v7, s36
	v_add_co_ci_u32_e64 v8, null, s37, v8, s2
	s_or_b32 s88, vcc_lo, s88
	s_waitcnt vmcnt(0)
	global_store_dwordx2 v[12:13], v[10:11], off
	s_andn2_b32 exec_lo, exec_lo, s88
	s_cbranch_execz .LBB10_53
.LBB10_50:                              ;   Parent Loop BB10_4 Depth=1
                                        ; =>  This Loop Header: Depth=2
                                        ;       Child Loop BB10_52 Depth 3
	v_ashrrev_i32_e32 v10, 31, v9
	v_lshlrev_b64 v[12:13], 3, v[9:10]
	v_add_co_u32 v10, vcc_lo, s86, v12
	v_add_co_ci_u32_e64 v11, null, s87, v13, vcc_lo
	s_andn2_b32 vcc_lo, exec_lo, s70
	global_load_dwordx2 v[10:11], v[10:11], off
	s_cbranch_vccnz .LBB10_49
; %bb.51:                               ;   in Loop: Header=BB10_50 Depth=2
	s_mov_b64 s[50:51], 0
	s_mov_b64 s[52:53], s[48:49]
	;; [unrolled: 1-line block ×3, first 2 shown]
	s_mov_b32 s2, s69
	s_inst_prefetch 0x1
	.p2align	6
.LBB10_52:                              ;   Parent Loop BB10_4 Depth=1
                                        ;     Parent Loop BB10_50 Depth=2
                                        ; =>    This Inner Loop Header: Depth=3
	v_add_co_u32 v14, vcc_lo, v7, s50
	v_add_co_ci_u32_e64 v15, null, s51, v8, vcc_lo
	s_add_i32 s2, s2, -1
	s_clause 0x1
	global_load_dwordx2 v[16:17], v36, s[54:55]
	global_load_dwordx2 v[37:38], v36, s[52:53]
	global_load_dwordx2 v[14:15], v[14:15], off
	s_waitcnt vmcnt(0)
	v_mul_f64 v[39:40], v[37:38], v[14:15]
	v_mul_f64 v[14:15], v[16:17], v[14:15]
	v_fma_f64 v[16:17], v[10:11], v[16:17], -v[39:40]
	v_fma_f64 v[10:11], v[10:11], v[37:38], v[14:15]
	v_add_co_u32 v14, vcc_lo, v5, s50
	s_sub_u32 s50, s50, s34
	v_add_co_ci_u32_e64 v15, null, s51, v6, vcc_lo
	s_subb_u32 s51, s51, s35
	s_add_u32 s54, s54, -8
	s_addc_u32 s55, s55, -1
	s_add_u32 s52, s52, -8
	s_addc_u32 s53, s53, -1
	s_cmp_eq_u32 s2, 0
	global_store_dwordx2 v[14:15], v[16:17], off
	s_cbranch_scc0 .LBB10_52
	s_branch .LBB10_49
.LBB10_53:                              ;   in Loop: Header=BB10_4 Depth=1
	s_or_b32 exec_lo, exec_lo, s85
.LBB10_54:                              ;   in Loop: Header=BB10_4 Depth=1
	s_mov_b32 s46, 0
.LBB10_55:                              ;   in Loop: Header=BB10_4 Depth=1
	s_andn2_b32 vcc_lo, exec_lo, s46
	s_cbranch_vccnz .LBB10_62
; %bb.56:                               ;   in Loop: Header=BB10_4 Depth=1
	s_and_saveexec_b32 s50, s0
	s_cbranch_execz .LBB10_61
; %bb.57:                               ;   in Loop: Header=BB10_4 Depth=1
	s_lshl_b64 s[46:47], s[26:27], 3
	v_mov_b32_e32 v5, v0
	s_add_u32 s51, s81, s46
	s_addc_u32 s52, s82, s47
	s_mov_b32 s53, 0
	s_branch .LBB10_59
.LBB10_58:                              ;   in Loop: Header=BB10_59 Depth=2
	v_add_nc_u32_e32 v5, s4, v5
	v_add_co_u32 v8, vcc_lo, s51, v8
	v_add_co_ci_u32_e64 v9, null, s52, v9, vcc_lo
	v_cmp_le_i32_e32 vcc_lo, s3, v5
	v_add_co_u32 v3, s2, v3, s36
	v_add_co_ci_u32_e64 v4, null, s37, v4, s2
	s_or_b32 s53, vcc_lo, s53
	s_waitcnt vmcnt(0)
	global_store_dwordx2 v[8:9], v[6:7], off
	s_andn2_b32 exec_lo, exec_lo, s53
	s_cbranch_execz .LBB10_61
.LBB10_59:                              ;   Parent Loop BB10_4 Depth=1
                                        ; =>  This Loop Header: Depth=2
                                        ;       Child Loop BB10_60 Depth 3
	v_ashrrev_i32_e32 v6, 31, v5
	v_mov_b32_e32 v11, v4
	v_mov_b32_e32 v10, v3
	s_mov_b64 s[46:47], s[40:41]
	s_mov_b64 s[48:49], s[16:17]
	v_lshlrev_b64 v[8:9], 3, v[5:6]
	s_mov_b32 s2, s69
	v_add_co_u32 v6, vcc_lo, s81, v8
	v_add_co_ci_u32_e64 v7, null, s82, v9, vcc_lo
	s_andn2_b32 vcc_lo, exec_lo, s70
	global_load_dwordx2 v[6:7], v[6:7], off
	s_cbranch_vccnz .LBB10_58
	.p2align	6
.LBB10_60:                              ;   Parent Loop BB10_4 Depth=1
                                        ;     Parent Loop BB10_59 Depth=2
                                        ; =>    This Inner Loop Header: Depth=3
	v_add_co_u32 v12, vcc_lo, v10, s34
	v_add_co_ci_u32_e64 v13, null, s35, v11, vcc_lo
	s_add_i32 s2, s2, -1
	global_load_dwordx2 v[14:15], v[12:13], off
	s_clause 0x1
	global_load_dwordx2 v[16:17], v36, s[46:47]
	global_load_dwordx2 v[37:38], v36, s[48:49]
	s_add_u32 s48, s48, 8
	s_addc_u32 s49, s49, 0
	s_add_u32 s46, s46, 8
	s_addc_u32 s47, s47, 0
	s_cmp_eq_u32 s2, 0
	s_waitcnt vmcnt(1)
	v_mul_f64 v[39:40], v[16:17], v[14:15]
	v_mul_f64 v[16:17], v[6:7], v[16:17]
	s_waitcnt vmcnt(0)
	v_fma_f64 v[39:40], v[6:7], v[37:38], v[39:40]
	v_fma_f64 v[6:7], v[37:38], v[14:15], -v[16:17]
	global_store_dwordx2 v[10:11], v[39:40], off
	v_mov_b32_e32 v10, v12
	v_mov_b32_e32 v11, v13
	s_cbranch_scc0 .LBB10_60
	s_branch .LBB10_58
.LBB10_61:                              ;   in Loop: Header=BB10_4 Depth=1
	s_or_b32 exec_lo, exec_lo, s50
.LBB10_62:                              ;   in Loop: Header=BB10_4 Depth=1
	s_mov_b32 s46, 0
.LBB10_63:                              ;   in Loop: Header=BB10_4 Depth=1
	s_andn2_b32 vcc_lo, exec_lo, s46
	s_cbranch_vccnz .LBB10_70
; %bb.64:                               ;   in Loop: Header=BB10_4 Depth=1
	s_and_saveexec_b32 s50, s1
	s_cbranch_execz .LBB10_69
; %bb.65:                               ;   in Loop: Header=BB10_4 Depth=1
	v_add_co_u32 v3, vcc_lo, v26, s84
	v_add_co_ci_u32_e64 v4, null, s83, v27, vcc_lo
	s_lshl_b64 s[46:47], s[28:29], 3
	v_mov_b32_e32 v11, v0
	s_add_u32 s51, s81, s46
	s_addc_u32 s52, s82, s47
	s_mov_b32 s53, 0
	s_branch .LBB10_67
.LBB10_66:                              ;   in Loop: Header=BB10_67 Depth=2
	v_add_nc_u32_e32 v11, s4, v11
	v_add_co_u32 v3, s2, v3, s38
	v_add_co_ci_u32_e64 v4, null, s39, v4, s2
	v_cmp_le_i32_e32 vcc_lo, s56, v11
	s_waitcnt vmcnt(0)
	global_store_dwordx2 v[5:6], v[7:8], off offset:-8
	s_or_b32 s53, vcc_lo, s53
	s_andn2_b32 exec_lo, exec_lo, s53
	s_cbranch_execz .LBB10_69
.LBB10_67:                              ;   Parent Loop BB10_4 Depth=1
                                        ; =>  This Loop Header: Depth=2
                                        ;       Child Loop BB10_68 Depth 3
	v_mad_i64_i32 v[5:6], null, v11, s20, 0
	v_mov_b32_e32 v10, v4
	v_mov_b32_e32 v9, v3
	s_mov_b64 s[46:47], s[44:45]
	s_mov_b64 s[48:49], s[42:43]
	s_mov_b32 s2, s24
	v_lshlrev_b64 v[5:6], 3, v[5:6]
	v_add_co_u32 v5, vcc_lo, s51, v5
	v_add_co_ci_u32_e64 v6, null, s52, v6, vcc_lo
	s_andn2_b32 vcc_lo, exec_lo, s71
	global_load_dwordx2 v[7:8], v[5:6], off offset:-8
	s_cbranch_vccnz .LBB10_66
	.p2align	6
.LBB10_68:                              ;   Parent Loop BB10_4 Depth=1
                                        ;     Parent Loop BB10_67 Depth=2
                                        ; =>    This Inner Loop Header: Depth=3
	global_load_dwordx2 v[12:13], v[9:10], off
	s_clause 0x1
	global_load_dwordx2 v[14:15], v36, s[48:49]
	global_load_dwordx2 v[16:17], v36, s[46:47]
	s_add_i32 s2, s2, -1
	s_add_u32 s48, s48, -8
	s_addc_u32 s49, s49, -1
	s_add_u32 s46, s46, -8
	s_addc_u32 s47, s47, -1
	s_cmp_eq_u32 s2, 0
	s_waitcnt vmcnt(1)
	v_mul_f64 v[37:38], v[14:15], v[12:13]
	s_waitcnt vmcnt(0)
	v_mul_f64 v[12:13], v[16:17], v[12:13]
	v_fma_f64 v[16:17], v[7:8], v[16:17], v[37:38]
	v_fma_f64 v[7:8], v[7:8], v[14:15], -v[12:13]
	global_store_dwordx2 v[9:10], v[16:17], off
	v_add_co_u32 v9, vcc_lo, v9, -8
	v_add_co_ci_u32_e64 v10, null, -1, v10, vcc_lo
	s_cbranch_scc0 .LBB10_68
	s_branch .LBB10_66
.LBB10_69:                              ;   in Loop: Header=BB10_4 Depth=1
	s_or_b32 exec_lo, exec_lo, s50
.LBB10_70:                              ;   in Loop: Header=BB10_4 Depth=1
	s_mov_b32 s46, 0
.LBB10_71:                              ;   in Loop: Header=BB10_4 Depth=1
	s_andn2_b32 vcc_lo, exec_lo, s46
	s_cbranch_vccnz .LBB10_78
; %bb.72:                               ;   in Loop: Header=BB10_4 Depth=1
	s_and_saveexec_b32 s50, s1
	s_cbranch_execz .LBB10_77
; %bb.73:                               ;   in Loop: Header=BB10_4 Depth=1
	v_add_co_u32 v3, vcc_lo, v28, s84
	v_add_co_ci_u32_e64 v4, null, s83, v29, vcc_lo
	s_lshl_b64 s[46:47], s[28:29], 3
	v_mov_b32_e32 v11, v0
	s_add_u32 s51, s81, s46
	s_addc_u32 s52, s82, s47
	s_mov_b32 s53, 0
	s_branch .LBB10_75
.LBB10_74:                              ;   in Loop: Header=BB10_75 Depth=2
	v_add_nc_u32_e32 v11, s4, v11
	v_add_co_u32 v3, s2, v3, s38
	v_add_co_ci_u32_e64 v4, null, s39, v4, s2
	v_cmp_le_i32_e32 vcc_lo, s56, v11
	s_waitcnt vmcnt(0)
	global_store_dwordx2 v[5:6], v[7:8], off offset:-8
	s_or_b32 s53, vcc_lo, s53
	s_andn2_b32 exec_lo, exec_lo, s53
	s_cbranch_execz .LBB10_77
.LBB10_75:                              ;   Parent Loop BB10_4 Depth=1
                                        ; =>  This Loop Header: Depth=2
                                        ;       Child Loop BB10_76 Depth 3
	v_mad_i64_i32 v[5:6], null, v11, s20, 0
	v_mov_b32_e32 v10, v4
	v_mov_b32_e32 v9, v3
	s_mov_b64 s[46:47], s[40:41]
	s_mov_b64 s[48:49], s[16:17]
	s_mov_b32 s2, s24
	v_lshlrev_b64 v[5:6], 3, v[5:6]
	v_add_co_u32 v5, vcc_lo, s51, v5
	v_add_co_ci_u32_e64 v6, null, s52, v6, vcc_lo
	s_andn2_b32 vcc_lo, exec_lo, s71
	global_load_dwordx2 v[7:8], v[5:6], off offset:-8
	s_cbranch_vccnz .LBB10_74
	.p2align	6
.LBB10_76:                              ;   Parent Loop BB10_4 Depth=1
                                        ;     Parent Loop BB10_75 Depth=2
                                        ; =>    This Inner Loop Header: Depth=3
	global_load_dwordx2 v[12:13], v[9:10], off
	s_clause 0x1
	global_load_dwordx2 v[14:15], v36, s[48:49]
	global_load_dwordx2 v[16:17], v36, s[46:47]
	s_add_i32 s2, s2, -1
	s_add_u32 s48, s48, 8
	s_addc_u32 s49, s49, 0
	s_add_u32 s46, s46, 8
	s_addc_u32 s47, s47, 0
	s_cmp_eq_u32 s2, 0
	s_waitcnt vmcnt(1)
	v_mul_f64 v[37:38], v[14:15], v[12:13]
	s_waitcnt vmcnt(0)
	v_mul_f64 v[12:13], v[16:17], v[12:13]
	v_fma_f64 v[16:17], v[7:8], v[16:17], v[37:38]
	v_fma_f64 v[7:8], v[7:8], v[14:15], -v[12:13]
	global_store_dwordx2 v[9:10], v[16:17], off
	v_add_co_u32 v9, vcc_lo, v9, 8
	v_add_co_ci_u32_e64 v10, null, 0, v10, vcc_lo
	s_cbranch_scc0 .LBB10_76
	s_branch .LBB10_74
.LBB10_77:                              ;   in Loop: Header=BB10_4 Depth=1
	s_or_b32 exec_lo, exec_lo, s50
.LBB10_78:                              ;   in Loop: Header=BB10_4 Depth=1
	s_mov_b32 s46, 0
.LBB10_79:                              ;   in Loop: Header=BB10_4 Depth=1
	s_andn2_b32 vcc_lo, exec_lo, s46
	s_cbranch_vccnz .LBB10_86
; %bb.80:                               ;   in Loop: Header=BB10_4 Depth=1
	s_and_saveexec_b32 s50, s1
	s_cbranch_execz .LBB10_85
; %bb.81:                               ;   in Loop: Header=BB10_4 Depth=1
	v_add_co_u32 v3, vcc_lo, v30, s84
	v_add_co_ci_u32_e64 v4, null, s83, v31, vcc_lo
	v_mov_b32_e32 v11, v0
	s_mov_b32 s51, 0
	s_branch .LBB10_83
.LBB10_82:                              ;   in Loop: Header=BB10_83 Depth=2
	v_add_nc_u32_e32 v11, s4, v11
	v_add_co_u32 v3, s2, v3, s38
	v_add_co_ci_u32_e64 v4, null, s39, v4, s2
	v_cmp_le_i32_e32 vcc_lo, s56, v11
	s_waitcnt vmcnt(0)
	global_store_dwordx2 v[5:6], v[7:8], off
	s_or_b32 s51, vcc_lo, s51
	s_andn2_b32 exec_lo, exec_lo, s51
	s_cbranch_execz .LBB10_85
.LBB10_83:                              ;   Parent Loop BB10_4 Depth=1
                                        ; =>  This Loop Header: Depth=2
                                        ;       Child Loop BB10_84 Depth 3
	v_mad_i64_i32 v[5:6], null, v11, s20, 0
	v_mov_b32_e32 v10, v4
	v_mov_b32_e32 v9, v3
	s_mov_b64 s[46:47], s[44:45]
	s_mov_b64 s[48:49], s[42:43]
	s_mov_b32 s2, s25
	v_lshlrev_b64 v[5:6], 3, v[5:6]
	v_add_co_u32 v5, vcc_lo, s81, v5
	v_add_co_ci_u32_e64 v6, null, s82, v6, vcc_lo
	s_andn2_b32 vcc_lo, exec_lo, s71
	global_load_dwordx2 v[7:8], v[5:6], off
	s_cbranch_vccnz .LBB10_82
	.p2align	6
.LBB10_84:                              ;   Parent Loop BB10_4 Depth=1
                                        ;     Parent Loop BB10_83 Depth=2
                                        ; =>    This Inner Loop Header: Depth=3
	s_clause 0x1
	global_load_dwordx2 v[12:13], v36, s[46:47]
	global_load_dwordx2 v[14:15], v36, s[48:49]
	global_load_dwordx2 v[16:17], v[9:10], off
	s_add_i32 s2, s2, -1
	s_add_u32 s48, s48, -8
	s_addc_u32 s49, s49, -1
	s_add_u32 s46, s46, -8
	s_addc_u32 s47, s47, -1
	s_cmp_lt_u32 s2, 3
	s_waitcnt vmcnt(2)
	v_mul_f64 v[37:38], v[7:8], v[12:13]
	s_waitcnt vmcnt(0)
	v_mul_f64 v[12:13], v[12:13], v[16:17]
	v_fma_f64 v[16:17], v[14:15], v[16:17], -v[37:38]
	v_fma_f64 v[7:8], v[7:8], v[14:15], v[12:13]
	global_store_dwordx2 v[9:10], v[16:17], off
	v_add_co_u32 v9, vcc_lo, v9, -8
	v_add_co_ci_u32_e64 v10, null, -1, v10, vcc_lo
	s_cbranch_scc0 .LBB10_84
	s_branch .LBB10_82
.LBB10_85:                              ;   in Loop: Header=BB10_4 Depth=1
	s_or_b32 exec_lo, exec_lo, s50
.LBB10_86:                              ;   in Loop: Header=BB10_4 Depth=1
	s_mov_b32 s46, 0
.LBB10_87:                              ;   in Loop: Header=BB10_4 Depth=1
	s_andn2_b32 vcc_lo, exec_lo, s46
	s_cbranch_vccnz .LBB10_94
; %bb.88:                               ;   in Loop: Header=BB10_4 Depth=1
	s_and_saveexec_b32 s50, s1
	s_cbranch_execz .LBB10_93
; %bb.89:                               ;   in Loop: Header=BB10_4 Depth=1
	v_mov_b32_e32 v4, v2
	v_mov_b32_e32 v3, v1
	;; [unrolled: 1-line block ×3, first 2 shown]
	s_mov_b32 s51, 0
	s_branch .LBB10_91
.LBB10_90:                              ;   in Loop: Header=BB10_91 Depth=2
	v_add_nc_u32_e32 v11, s4, v11
	v_add_co_u32 v3, s2, v3, s38
	v_add_co_ci_u32_e64 v4, null, s39, v4, s2
	v_cmp_le_i32_e32 vcc_lo, s56, v11
	s_waitcnt vmcnt(0)
	global_store_dwordx2 v[5:6], v[7:8], off
	s_or_b32 s51, vcc_lo, s51
	s_andn2_b32 exec_lo, exec_lo, s51
	s_cbranch_execz .LBB10_93
.LBB10_91:                              ;   Parent Loop BB10_4 Depth=1
                                        ; =>  This Loop Header: Depth=2
                                        ;       Child Loop BB10_92 Depth 3
	v_mad_i64_i32 v[5:6], null, v11, s20, 0
	v_mov_b32_e32 v10, v4
	v_mov_b32_e32 v9, v3
	s_mov_b32 s2, s24
	s_mov_b64 s[46:47], s[16:17]
	s_mov_b64 s[48:49], s[40:41]
	v_lshlrev_b64 v[5:6], 3, v[5:6]
	v_add_co_u32 v5, vcc_lo, s81, v5
	v_add_co_ci_u32_e64 v6, null, s82, v6, vcc_lo
	s_andn2_b32 vcc_lo, exec_lo, s71
	global_load_dwordx2 v[7:8], v[5:6], off
	s_cbranch_vccnz .LBB10_90
	.p2align	6
.LBB10_92:                              ;   Parent Loop BB10_4 Depth=1
                                        ;     Parent Loop BB10_91 Depth=2
                                        ; =>    This Inner Loop Header: Depth=3
	s_clause 0x1
	global_load_dwordx2 v[12:13], v36, s[48:49]
	global_load_dwordx2 v[14:15], v36, s[46:47]
	global_load_dwordx2 v[16:17], v[9:10], off
	s_add_u32 s48, s48, 8
	s_addc_u32 s49, s49, 0
	s_add_u32 s46, s46, 8
	s_addc_u32 s47, s47, 0
	s_add_i32 s2, s2, -1
	s_cmp_eq_u32 s2, 0
	s_waitcnt vmcnt(2)
	v_mul_f64 v[37:38], v[7:8], v[12:13]
	s_waitcnt vmcnt(0)
	v_mul_f64 v[12:13], v[12:13], v[16:17]
	v_fma_f64 v[16:17], v[14:15], v[16:17], -v[37:38]
	v_fma_f64 v[7:8], v[7:8], v[14:15], v[12:13]
	global_store_dwordx2 v[9:10], v[16:17], off
	v_add_co_u32 v9, vcc_lo, v9, 8
	v_add_co_ci_u32_e64 v10, null, 0, v10, vcc_lo
	s_cbranch_scc0 .LBB10_92
	s_branch .LBB10_90
.LBB10_93:                              ;   in Loop: Header=BB10_4 Depth=1
	s_or_b32 exec_lo, exec_lo, s50
.LBB10_94:                              ;   in Loop: Header=BB10_4 Depth=1
	s_mov_b32 s46, 0
.LBB10_95:                              ;   in Loop: Header=BB10_4 Depth=1
	s_andn2_b32 vcc_lo, exec_lo, s46
	s_cbranch_vccnz .LBB10_102
; %bb.96:                               ;   in Loop: Header=BB10_4 Depth=1
	s_and_saveexec_b32 s50, s1
	s_cbranch_execz .LBB10_101
; %bb.97:                               ;   in Loop: Header=BB10_4 Depth=1
	v_add_co_u32 v3, vcc_lo, v34, s84
	v_add_co_ci_u32_e64 v4, null, s83, v35, vcc_lo
	s_lshl_b64 s[46:47], s[28:29], 3
	v_mov_b32_e32 v11, v0
	s_add_u32 s51, s81, s46
	s_addc_u32 s52, s82, s47
	s_mov_b32 s53, 0
	s_branch .LBB10_99
.LBB10_98:                              ;   in Loop: Header=BB10_99 Depth=2
	v_add_nc_u32_e32 v11, s4, v11
	v_add_co_u32 v7, vcc_lo, s81, v7
	v_add_co_ci_u32_e64 v8, null, s82, v8, vcc_lo
	v_cmp_le_i32_e32 vcc_lo, s56, v11
	v_add_co_u32 v3, s2, v3, s38
	v_add_co_ci_u32_e64 v4, null, s39, v4, s2
	s_or_b32 s53, vcc_lo, s53
	s_waitcnt vmcnt(0)
	global_store_dwordx2 v[7:8], v[5:6], off
	s_andn2_b32 exec_lo, exec_lo, s53
	s_cbranch_execz .LBB10_101
.LBB10_99:                              ;   Parent Loop BB10_4 Depth=1
                                        ; =>  This Loop Header: Depth=2
                                        ;       Child Loop BB10_100 Depth 3
	v_mad_i64_i32 v[5:6], null, v11, s20, 0
	v_mov_b32_e32 v10, v4
	v_mov_b32_e32 v9, v3
	s_mov_b64 s[46:47], s[44:45]
	s_mov_b64 s[48:49], s[42:43]
	s_mov_b32 s2, s24
	v_lshlrev_b64 v[7:8], 3, v[5:6]
	v_add_co_u32 v5, vcc_lo, s51, v7
	v_add_co_ci_u32_e64 v6, null, s52, v8, vcc_lo
	s_andn2_b32 vcc_lo, exec_lo, s71
	global_load_dwordx2 v[5:6], v[5:6], off offset:-8
	s_cbranch_vccnz .LBB10_98
	.p2align	6
.LBB10_100:                             ;   Parent Loop BB10_4 Depth=1
                                        ;     Parent Loop BB10_99 Depth=2
                                        ; =>    This Inner Loop Header: Depth=3
	global_load_dwordx2 v[12:13], v[9:10], off offset:-8
	s_clause 0x1
	global_load_dwordx2 v[14:15], v36, s[46:47]
	global_load_dwordx2 v[16:17], v36, s[48:49]
	s_add_i32 s2, s2, -1
	s_add_u32 s48, s48, -8
	s_addc_u32 s49, s49, -1
	s_add_u32 s46, s46, -8
	s_addc_u32 s47, s47, -1
	s_cmp_eq_u32 s2, 0
	s_waitcnt vmcnt(1)
	v_mul_f64 v[37:38], v[14:15], v[12:13]
	s_waitcnt vmcnt(0)
	v_mul_f64 v[12:13], v[16:17], v[12:13]
	v_fma_f64 v[16:17], v[5:6], v[16:17], -v[37:38]
	v_fma_f64 v[5:6], v[5:6], v[14:15], v[12:13]
	v_add_co_u32 v12, vcc_lo, v9, -8
	v_add_co_ci_u32_e64 v13, null, -1, v10, vcc_lo
	global_store_dwordx2 v[9:10], v[16:17], off
	v_mov_b32_e32 v9, v12
	v_mov_b32_e32 v10, v13
	s_cbranch_scc0 .LBB10_100
	s_branch .LBB10_98
.LBB10_101:                             ;   in Loop: Header=BB10_4 Depth=1
	s_or_b32 exec_lo, exec_lo, s50
.LBB10_102:                             ;   in Loop: Header=BB10_4 Depth=1
	s_cbranch_execnz .LBB10_3
.LBB10_103:                             ;   in Loop: Header=BB10_4 Depth=1
	s_and_saveexec_b32 s46, s1
	s_cbranch_execz .LBB10_2
; %bb.104:                              ;   in Loop: Header=BB10_4 Depth=1
	s_lshl_b64 s[42:43], s[28:29], 3
	v_mov_b32_e32 v9, v0
	s_add_u32 s47, s81, s42
	s_addc_u32 s48, s82, s43
	s_mov_b32 s49, 0
	s_branch .LBB10_106
.LBB10_105:                             ;   in Loop: Header=BB10_106 Depth=2
	v_add_nc_u32_e32 v9, s4, v9
	v_add_co_u32 v5, vcc_lo, s47, v5
	v_add_co_ci_u32_e64 v6, null, s48, v6, vcc_lo
	v_cmp_le_i32_e32 vcc_lo, s56, v9
	v_add_co_u32 v1, s2, v1, s38
	v_add_co_ci_u32_e64 v2, null, s39, v2, s2
	s_or_b32 s49, vcc_lo, s49
	s_waitcnt vmcnt(0)
	global_store_dwordx2 v[5:6], v[3:4], off offset:-8
	s_andn2_b32 exec_lo, exec_lo, s49
	s_cbranch_execz .LBB10_2
.LBB10_106:                             ;   Parent Loop BB10_4 Depth=1
                                        ; =>  This Loop Header: Depth=2
                                        ;       Child Loop BB10_107 Depth 3
	v_mad_i64_i32 v[3:4], null, v9, s20, 0
	v_mov_b32_e32 v8, v2
	v_mov_b32_e32 v7, v1
	s_mov_b64 s[42:43], s[40:41]
	s_mov_b64 s[44:45], s[16:17]
	s_mov_b32 s2, s24
	v_lshlrev_b64 v[5:6], 3, v[3:4]
	v_add_co_u32 v3, vcc_lo, s81, v5
	v_add_co_ci_u32_e64 v4, null, s82, v6, vcc_lo
	s_andn2_b32 vcc_lo, exec_lo, s71
	global_load_dwordx2 v[3:4], v[3:4], off
	s_cbranch_vccnz .LBB10_105
	.p2align	6
.LBB10_107:                             ;   Parent Loop BB10_4 Depth=1
                                        ;     Parent Loop BB10_106 Depth=2
                                        ; =>    This Inner Loop Header: Depth=3
	global_load_dwordx2 v[10:11], v[7:8], off
	s_clause 0x1
	global_load_dwordx2 v[12:13], v36, s[42:43]
	global_load_dwordx2 v[14:15], v36, s[44:45]
	s_add_i32 s2, s2, -1
	s_add_u32 s44, s44, 8
	s_addc_u32 s45, s45, 0
	s_add_u32 s42, s42, 8
	s_addc_u32 s43, s43, 0
	s_cmp_eq_u32 s2, 0
	s_waitcnt vmcnt(1)
	v_mul_f64 v[16:17], v[12:13], v[10:11]
	v_mul_f64 v[12:13], v[3:4], v[12:13]
	s_waitcnt vmcnt(0)
	v_fma_f64 v[16:17], v[3:4], v[14:15], v[16:17]
	v_fma_f64 v[3:4], v[14:15], v[10:11], -v[12:13]
	global_store_dwordx2 v[7:8], v[16:17], off offset:-8
	v_add_co_u32 v7, vcc_lo, v7, 8
	v_add_co_ci_u32_e64 v8, null, 0, v8, vcc_lo
	s_cbranch_scc0 .LBB10_107
	s_branch .LBB10_105
.LBB10_108:
	s_endpgm
	.section	.rodata,"a",@progbits
	.p2align	6, 0x0
	.amdhsa_kernel _ZN9rocsolver6v33100L11lasr_kernelIddPdiEEv13rocblas_side_14rocblas_pivot_15rocblas_direct_T2_S6_PT0_lS8_lT1_lS6_lS6_
		.amdhsa_group_segment_fixed_size 0
		.amdhsa_private_segment_fixed_size 0
		.amdhsa_kernarg_size 352
		.amdhsa_user_sgpr_count 6
		.amdhsa_user_sgpr_private_segment_buffer 1
		.amdhsa_user_sgpr_dispatch_ptr 0
		.amdhsa_user_sgpr_queue_ptr 0
		.amdhsa_user_sgpr_kernarg_segment_ptr 1
		.amdhsa_user_sgpr_dispatch_id 0
		.amdhsa_user_sgpr_flat_scratch_init 0
		.amdhsa_user_sgpr_private_segment_size 0
		.amdhsa_wavefront_size32 1
		.amdhsa_uses_dynamic_stack 0
		.amdhsa_system_sgpr_private_segment_wavefront_offset 0
		.amdhsa_system_sgpr_workgroup_id_x 1
		.amdhsa_system_sgpr_workgroup_id_y 0
		.amdhsa_system_sgpr_workgroup_id_z 1
		.amdhsa_system_sgpr_workgroup_info 0
		.amdhsa_system_vgpr_workitem_id 0
		.amdhsa_next_free_vgpr 45
		.amdhsa_next_free_sgpr 89
		.amdhsa_reserve_vcc 1
		.amdhsa_reserve_flat_scratch 0
		.amdhsa_float_round_mode_32 0
		.amdhsa_float_round_mode_16_64 0
		.amdhsa_float_denorm_mode_32 3
		.amdhsa_float_denorm_mode_16_64 3
		.amdhsa_dx10_clamp 1
		.amdhsa_ieee_mode 1
		.amdhsa_fp16_overflow 0
		.amdhsa_workgroup_processor_mode 1
		.amdhsa_memory_ordered 1
		.amdhsa_forward_progress 1
		.amdhsa_shared_vgpr_count 0
		.amdhsa_exception_fp_ieee_invalid_op 0
		.amdhsa_exception_fp_denorm_src 0
		.amdhsa_exception_fp_ieee_div_zero 0
		.amdhsa_exception_fp_ieee_overflow 0
		.amdhsa_exception_fp_ieee_underflow 0
		.amdhsa_exception_fp_ieee_inexact 0
		.amdhsa_exception_int_div_zero 0
	.end_amdhsa_kernel
	.section	.text._ZN9rocsolver6v33100L11lasr_kernelIddPdiEEv13rocblas_side_14rocblas_pivot_15rocblas_direct_T2_S6_PT0_lS8_lT1_lS6_lS6_,"axG",@progbits,_ZN9rocsolver6v33100L11lasr_kernelIddPdiEEv13rocblas_side_14rocblas_pivot_15rocblas_direct_T2_S6_PT0_lS8_lT1_lS6_lS6_,comdat
.Lfunc_end10:
	.size	_ZN9rocsolver6v33100L11lasr_kernelIddPdiEEv13rocblas_side_14rocblas_pivot_15rocblas_direct_T2_S6_PT0_lS8_lT1_lS6_lS6_, .Lfunc_end10-_ZN9rocsolver6v33100L11lasr_kernelIddPdiEEv13rocblas_side_14rocblas_pivot_15rocblas_direct_T2_S6_PT0_lS8_lT1_lS6_lS6_
                                        ; -- End function
	.set _ZN9rocsolver6v33100L11lasr_kernelIddPdiEEv13rocblas_side_14rocblas_pivot_15rocblas_direct_T2_S6_PT0_lS8_lT1_lS6_lS6_.num_vgpr, 45
	.set _ZN9rocsolver6v33100L11lasr_kernelIddPdiEEv13rocblas_side_14rocblas_pivot_15rocblas_direct_T2_S6_PT0_lS8_lT1_lS6_lS6_.num_agpr, 0
	.set _ZN9rocsolver6v33100L11lasr_kernelIddPdiEEv13rocblas_side_14rocblas_pivot_15rocblas_direct_T2_S6_PT0_lS8_lT1_lS6_lS6_.numbered_sgpr, 89
	.set _ZN9rocsolver6v33100L11lasr_kernelIddPdiEEv13rocblas_side_14rocblas_pivot_15rocblas_direct_T2_S6_PT0_lS8_lT1_lS6_lS6_.num_named_barrier, 0
	.set _ZN9rocsolver6v33100L11lasr_kernelIddPdiEEv13rocblas_side_14rocblas_pivot_15rocblas_direct_T2_S6_PT0_lS8_lT1_lS6_lS6_.private_seg_size, 0
	.set _ZN9rocsolver6v33100L11lasr_kernelIddPdiEEv13rocblas_side_14rocblas_pivot_15rocblas_direct_T2_S6_PT0_lS8_lT1_lS6_lS6_.uses_vcc, 1
	.set _ZN9rocsolver6v33100L11lasr_kernelIddPdiEEv13rocblas_side_14rocblas_pivot_15rocblas_direct_T2_S6_PT0_lS8_lT1_lS6_lS6_.uses_flat_scratch, 0
	.set _ZN9rocsolver6v33100L11lasr_kernelIddPdiEEv13rocblas_side_14rocblas_pivot_15rocblas_direct_T2_S6_PT0_lS8_lT1_lS6_lS6_.has_dyn_sized_stack, 0
	.set _ZN9rocsolver6v33100L11lasr_kernelIddPdiEEv13rocblas_side_14rocblas_pivot_15rocblas_direct_T2_S6_PT0_lS8_lT1_lS6_lS6_.has_recursion, 0
	.set _ZN9rocsolver6v33100L11lasr_kernelIddPdiEEv13rocblas_side_14rocblas_pivot_15rocblas_direct_T2_S6_PT0_lS8_lT1_lS6_lS6_.has_indirect_call, 0
	.section	.AMDGPU.csdata,"",@progbits
; Kernel info:
; codeLenInByte = 4928
; TotalNumSgprs: 91
; NumVgprs: 45
; ScratchSize: 0
; MemoryBound: 0
; FloatMode: 240
; IeeeMode: 1
; LDSByteSize: 0 bytes/workgroup (compile time only)
; SGPRBlocks: 0
; VGPRBlocks: 5
; NumSGPRsForWavesPerEU: 91
; NumVGPRsForWavesPerEU: 45
; Occupancy: 16
; WaveLimiterHint : 0
; COMPUTE_PGM_RSRC2:SCRATCH_EN: 0
; COMPUTE_PGM_RSRC2:USER_SGPR: 6
; COMPUTE_PGM_RSRC2:TRAP_HANDLER: 0
; COMPUTE_PGM_RSRC2:TGID_X_EN: 1
; COMPUTE_PGM_RSRC2:TGID_Y_EN: 0
; COMPUTE_PGM_RSRC2:TGID_Z_EN: 1
; COMPUTE_PGM_RSRC2:TIDIG_COMP_CNT: 0
	.section	.text._ZN9rocsolver6v33100L11swap_kernelIdiEEvT0_PT_S2_S4_S2_,"axG",@progbits,_ZN9rocsolver6v33100L11swap_kernelIdiEEvT0_PT_S2_S4_S2_,comdat
	.globl	_ZN9rocsolver6v33100L11swap_kernelIdiEEvT0_PT_S2_S4_S2_ ; -- Begin function _ZN9rocsolver6v33100L11swap_kernelIdiEEvT0_PT_S2_S4_S2_
	.p2align	8
	.type	_ZN9rocsolver6v33100L11swap_kernelIdiEEvT0_PT_S2_S4_S2_,@function
_ZN9rocsolver6v33100L11swap_kernelIdiEEvT0_PT_S2_S4_S2_: ; @_ZN9rocsolver6v33100L11swap_kernelIdiEEvT0_PT_S2_S4_S2_
; %bb.0:
	s_load_dword s12, s[4:5], 0x0
	s_waitcnt lgkmcnt(0)
	s_cmp_lt_i32 s12, 1
	s_cbranch_scc1 .LBB11_10
; %bb.1:
	s_clause 0x5
	s_load_dword s0, s[4:5], 0x34
	s_load_dword s1, s[4:5], 0x10
	;; [unrolled: 1-line block ×4, first 2 shown]
	s_load_dwordx2 s[2:3], s[4:5], 0x8
	s_load_dwordx2 s[4:5], s[4:5], 0x18
	s_waitcnt lgkmcnt(0)
	s_and_b32 s0, s0, 0xffff
	s_cmp_eq_u32 s1, 1
	v_mad_u64_u32 v[0:1], null, s6, s0, v[0:1]
	s_cselect_b32 s9, -1, 0
	s_cmp_eq_u32 s8, 1
	s_mul_i32 s6, s7, s0
	s_cselect_b32 s10, -1, 0
	s_and_b32 s7, s9, s10
	v_cmp_gt_i32_e64 s0, s12, v0
	s_and_b32 vcc_lo, exec_lo, s7
	s_mov_b32 s7, -1
	s_cbranch_vccnz .LBB11_6
; %bb.2:
	s_and_saveexec_b32 s7, s0
	s_cbranch_execz .LBB11_5
; %bb.3:
	v_mad_i64_i32 v[1:2], null, s8, v0, 0
	v_mad_i64_i32 v[3:4], null, s1, v0, 0
	v_mov_b32_e32 v5, v0
	s_mul_hi_i32 s9, s8, s6
	s_mul_i32 s8, s8, s6
	s_mul_hi_i32 s11, s1, s6
	v_lshlrev_b64 v[1:2], 3, v[1:2]
	s_mul_i32 s10, s1, s6
	v_lshlrev_b64 v[3:4], 3, v[3:4]
	s_lshl_b64 s[8:9], s[8:9], 3
	s_lshl_b64 s[10:11], s[10:11], 3
	s_mov_b32 s13, 0
	v_add_co_u32 v1, vcc_lo, s4, v1
	v_add_co_ci_u32_e64 v2, null, s5, v2, vcc_lo
	v_add_co_u32 v3, vcc_lo, s2, v3
	v_add_co_ci_u32_e64 v4, null, s3, v4, vcc_lo
	.p2align	6
.LBB11_4:                               ; =>This Inner Loop Header: Depth=1
	global_load_dwordx2 v[6:7], v[3:4], off
	global_load_dwordx2 v[8:9], v[1:2], off
	v_add_nc_u32_e32 v5, s6, v5
	s_waitcnt vmcnt(1)
	global_store_dwordx2 v[1:2], v[6:7], off
	s_waitcnt vmcnt(0)
	global_store_dwordx2 v[3:4], v[8:9], off
	v_add_co_u32 v1, s1, v1, s8
	v_cmp_le_i32_e32 vcc_lo, s12, v5
	v_add_co_ci_u32_e64 v2, null, s9, v2, s1
	v_add_co_u32 v3, s1, v3, s10
	v_add_co_ci_u32_e64 v4, null, s11, v4, s1
	s_or_b32 s13, vcc_lo, s13
	s_andn2_b32 exec_lo, exec_lo, s13
	s_cbranch_execnz .LBB11_4
.LBB11_5:
	s_or_b32 exec_lo, exec_lo, s7
	s_mov_b32 s7, 0
.LBB11_6:
	s_andn2_b32 vcc_lo, exec_lo, s7
	s_cbranch_vccnz .LBB11_10
; %bb.7:
	s_and_saveexec_b32 s1, s0
	s_cbranch_execz .LBB11_10
; %bb.8:
	v_ashrrev_i32_e32 v1, 31, v0
	s_ashr_i32 s7, s6, 31
	s_mov_b32 s1, 0
	s_lshl_b64 s[8:9], s[6:7], 3
	v_lshlrev_b64 v[1:2], 3, v[0:1]
	.p2align	6
.LBB11_9:                               ; =>This Inner Loop Header: Depth=1
	v_add_co_u32 v3, vcc_lo, s2, v1
	v_add_co_ci_u32_e64 v4, null, s3, v2, vcc_lo
	v_add_co_u32 v5, vcc_lo, s4, v1
	v_add_co_ci_u32_e64 v6, null, s5, v2, vcc_lo
	global_load_dwordx2 v[7:8], v[3:4], off
	global_load_dwordx2 v[9:10], v[5:6], off
	v_add_nc_u32_e32 v0, s6, v0
	v_add_co_u32 v1, s0, v1, s8
	v_add_co_ci_u32_e64 v2, null, s9, v2, s0
	v_cmp_le_i32_e32 vcc_lo, s12, v0
	s_waitcnt vmcnt(1)
	global_store_dwordx2 v[5:6], v[7:8], off
	s_waitcnt vmcnt(0)
	global_store_dwordx2 v[3:4], v[9:10], off
	s_or_b32 s1, vcc_lo, s1
	s_andn2_b32 exec_lo, exec_lo, s1
	s_cbranch_execnz .LBB11_9
.LBB11_10:
	s_endpgm
	.section	.rodata,"a",@progbits
	.p2align	6, 0x0
	.amdhsa_kernel _ZN9rocsolver6v33100L11swap_kernelIdiEEvT0_PT_S2_S4_S2_
		.amdhsa_group_segment_fixed_size 0
		.amdhsa_private_segment_fixed_size 0
		.amdhsa_kernarg_size 296
		.amdhsa_user_sgpr_count 6
		.amdhsa_user_sgpr_private_segment_buffer 1
		.amdhsa_user_sgpr_dispatch_ptr 0
		.amdhsa_user_sgpr_queue_ptr 0
		.amdhsa_user_sgpr_kernarg_segment_ptr 1
		.amdhsa_user_sgpr_dispatch_id 0
		.amdhsa_user_sgpr_flat_scratch_init 0
		.amdhsa_user_sgpr_private_segment_size 0
		.amdhsa_wavefront_size32 1
		.amdhsa_uses_dynamic_stack 0
		.amdhsa_system_sgpr_private_segment_wavefront_offset 0
		.amdhsa_system_sgpr_workgroup_id_x 1
		.amdhsa_system_sgpr_workgroup_id_y 0
		.amdhsa_system_sgpr_workgroup_id_z 0
		.amdhsa_system_sgpr_workgroup_info 0
		.amdhsa_system_vgpr_workitem_id 0
		.amdhsa_next_free_vgpr 11
		.amdhsa_next_free_sgpr 14
		.amdhsa_reserve_vcc 1
		.amdhsa_reserve_flat_scratch 0
		.amdhsa_float_round_mode_32 0
		.amdhsa_float_round_mode_16_64 0
		.amdhsa_float_denorm_mode_32 3
		.amdhsa_float_denorm_mode_16_64 3
		.amdhsa_dx10_clamp 1
		.amdhsa_ieee_mode 1
		.amdhsa_fp16_overflow 0
		.amdhsa_workgroup_processor_mode 1
		.amdhsa_memory_ordered 1
		.amdhsa_forward_progress 1
		.amdhsa_shared_vgpr_count 0
		.amdhsa_exception_fp_ieee_invalid_op 0
		.amdhsa_exception_fp_denorm_src 0
		.amdhsa_exception_fp_ieee_div_zero 0
		.amdhsa_exception_fp_ieee_overflow 0
		.amdhsa_exception_fp_ieee_underflow 0
		.amdhsa_exception_fp_ieee_inexact 0
		.amdhsa_exception_int_div_zero 0
	.end_amdhsa_kernel
	.section	.text._ZN9rocsolver6v33100L11swap_kernelIdiEEvT0_PT_S2_S4_S2_,"axG",@progbits,_ZN9rocsolver6v33100L11swap_kernelIdiEEvT0_PT_S2_S4_S2_,comdat
.Lfunc_end11:
	.size	_ZN9rocsolver6v33100L11swap_kernelIdiEEvT0_PT_S2_S4_S2_, .Lfunc_end11-_ZN9rocsolver6v33100L11swap_kernelIdiEEvT0_PT_S2_S4_S2_
                                        ; -- End function
	.set _ZN9rocsolver6v33100L11swap_kernelIdiEEvT0_PT_S2_S4_S2_.num_vgpr, 11
	.set _ZN9rocsolver6v33100L11swap_kernelIdiEEvT0_PT_S2_S4_S2_.num_agpr, 0
	.set _ZN9rocsolver6v33100L11swap_kernelIdiEEvT0_PT_S2_S4_S2_.numbered_sgpr, 14
	.set _ZN9rocsolver6v33100L11swap_kernelIdiEEvT0_PT_S2_S4_S2_.num_named_barrier, 0
	.set _ZN9rocsolver6v33100L11swap_kernelIdiEEvT0_PT_S2_S4_S2_.private_seg_size, 0
	.set _ZN9rocsolver6v33100L11swap_kernelIdiEEvT0_PT_S2_S4_S2_.uses_vcc, 1
	.set _ZN9rocsolver6v33100L11swap_kernelIdiEEvT0_PT_S2_S4_S2_.uses_flat_scratch, 0
	.set _ZN9rocsolver6v33100L11swap_kernelIdiEEvT0_PT_S2_S4_S2_.has_dyn_sized_stack, 0
	.set _ZN9rocsolver6v33100L11swap_kernelIdiEEvT0_PT_S2_S4_S2_.has_recursion, 0
	.set _ZN9rocsolver6v33100L11swap_kernelIdiEEvT0_PT_S2_S4_S2_.has_indirect_call, 0
	.section	.AMDGPU.csdata,"",@progbits
; Kernel info:
; codeLenInByte = 560
; TotalNumSgprs: 16
; NumVgprs: 11
; ScratchSize: 0
; MemoryBound: 0
; FloatMode: 240
; IeeeMode: 1
; LDSByteSize: 0 bytes/workgroup (compile time only)
; SGPRBlocks: 0
; VGPRBlocks: 1
; NumSGPRsForWavesPerEU: 16
; NumVGPRsForWavesPerEU: 11
; Occupancy: 16
; WaveLimiterHint : 0
; COMPUTE_PGM_RSRC2:SCRATCH_EN: 0
; COMPUTE_PGM_RSRC2:USER_SGPR: 6
; COMPUTE_PGM_RSRC2:TRAP_HANDLER: 0
; COMPUTE_PGM_RSRC2:TGID_X_EN: 1
; COMPUTE_PGM_RSRC2:TGID_Y_EN: 0
; COMPUTE_PGM_RSRC2:TGID_Z_EN: 0
; COMPUTE_PGM_RSRC2:TIDIG_COMP_CNT: 0
	.section	.text._ZN9rocsolver6v33100L12steqr_kernelIddPdEEviPT0_lS4_lT1_iilPiS4_iS3_S3_S3_,"axG",@progbits,_ZN9rocsolver6v33100L12steqr_kernelIddPdEEviPT0_lS4_lT1_iilPiS4_iS3_S3_S3_,comdat
	.globl	_ZN9rocsolver6v33100L12steqr_kernelIddPdEEviPT0_lS4_lT1_iilPiS4_iS3_S3_S3_ ; -- Begin function _ZN9rocsolver6v33100L12steqr_kernelIddPdEEviPT0_lS4_lT1_iilPiS4_iS3_S3_S3_
	.p2align	8
	.type	_ZN9rocsolver6v33100L12steqr_kernelIddPdEEviPT0_lS4_lT1_iilPiS4_iS3_S3_S3_,@function
_ZN9rocsolver6v33100L12steqr_kernelIddPdEEviPT0_lS4_lT1_iilPiS4_iS3_S3_S3_: ; @_ZN9rocsolver6v33100L12steqr_kernelIddPdEEviPT0_lS4_lT1_iilPiS4_iS3_S3_S3_
; %bb.0:
	s_clause 0x1
	s_load_dword s0, s[4:5], 0x7c
	s_load_dword s1, s[4:5], 0x70
	s_mov_b32 s28, s7
	s_waitcnt lgkmcnt(0)
	s_and_b32 s7, s0, 0xffff
	v_mad_u64_u32 v[4:5], null, s6, s7, v[0:1]
	v_cmp_eq_u32_e64 s0, 0, v4
	s_and_saveexec_b32 s2, s0
; %bb.1:
	v_mov_b32_e32 v0, 0
	ds_write2_b32 v0, v0, v0 offset0:6 offset1:9
; %bb.2:
	s_or_b32 exec_lo, exec_lo, s2
	s_load_dwordx8 s[16:23], s[4:5], 0x8
	v_mov_b32_e32 v6, 0
	s_load_dword s6, s[4:5], 0x0
	s_waitcnt lgkmcnt(0)
	s_barrier
	buffer_gl0_inv
	ds_read2_b32 v[0:1], v6 offset0:6 offset1:9
	s_clause 0x2
	s_load_dword s33, s[4:5], 0x50
	s_load_dwordx8 s[8:15], s[4:5], 0x28
	s_load_dwordx2 s[2:3], s[4:5], 0x48
	s_ashr_i32 s29, s28, 31
	s_mul_i32 s30, s1, s7
	s_mul_hi_u32 s1, s18, s28
	s_mul_i32 s7, s18, s29
	s_mul_i32 s19, s19, s28
	s_add_i32 s1, s1, s7
	s_mul_i32 s18, s18, s28
	s_add_i32 s19, s1, s19
	s_mul_hi_u32 s24, s22, s28
	s_mul_i32 s25, s22, s29
	s_mul_i32 s26, s23, s28
	;; [unrolled: 1-line block ×3, first 2 shown]
	s_lshl_b64 s[22:23], s[18:19], 3
	s_waitcnt lgkmcnt(0)
	v_cmp_gt_i32_e32 vcc_lo, s6, v0
	v_cmp_gt_i32_e64 s1, s33, v1
	s_add_u32 s18, s16, s22
	s_addc_u32 s19, s17, s23
	s_add_i32 s24, s24, s25
	s_mul_hi_u32 s7, s12, s28
	s_add_i32 s39, s24, s26
	s_mul_i32 s24, s12, s29
	v_readfirstlane_b32 s58, v0
	s_and_b32 s1, vcc_lo, s1
	s_add_i32 s7, s7, s24
	s_mul_i32 s13, s13, s28
	s_ashr_i32 s35, s10, 31
	s_mov_b32 s34, s10
	s_add_i32 s13, s7, s13
	s_mul_i32 s12, s12, s28
	s_andn2_b32 vcc_lo, exec_lo, s1
	s_add_i32 s36, s6, -1
	s_cbranch_vccnz .LBB12_231
; %bb.3:
	s_lshl_b64 s[40:41], s[38:39], 3
	s_clause 0x1
	s_load_dwordx4 s[24:27], s[4:5], 0x58
	s_load_dwordx2 s[4:5], s[4:5], 0x68
	s_lshl_b32 s1, s6, 1
	s_add_u32 s10, s20, s40
	s_addc_u32 s68, s21, s41
	s_lshl_b64 s[52:53], s[12:13], 3
	s_mul_hi_i32 s41, s1, s28
	s_add_u32 s7, s8, s52
	s_addc_u32 s31, s9, s53
	s_lshl_b64 s[54:55], s[34:35], 3
	s_mul_i32 s40, s1, s28
	s_add_u32 s69, s7, s54
	s_addc_u32 s70, s31, s55
	s_lshl_b64 s[46:47], s[40:41], 3
	v_ashrrev_i32_e32 v5, 31, v4
	s_add_u32 s71, s2, s46
	s_addc_u32 s72, s3, s47
	s_ashr_i32 s7, s6, 31
	s_ashr_i32 s41, s11, 31
	s_add_u32 s73, s16, s22
	s_addc_u32 s74, s17, s23
	s_add_u32 s75, s73, 8
	s_addc_u32 s76, s74, 0
	s_ashr_i32 s31, s30, 31
	s_lshl_b64 s[42:43], s[6:7], 3
	s_lshl_b64 s[44:45], s[30:31], 3
	s_add_u32 s7, s46, s42
	s_waitcnt lgkmcnt(0)
	v_mul_f64 v[8:9], s[24:25], s[24:25]
	s_addc_u32 s31, s47, s43
	s_add_u32 s2, s2, s7
	s_addc_u32 s3, s3, s31
	s_add_u32 s46, s2, -16
	s_addc_u32 s47, s3, -1
	s_add_u32 s48, s71, -8
	s_addc_u32 s49, s72, -1
	;; [unrolled: 2-line block ×3, first 2 shown]
	s_add_u32 s7, s42, -8
	v_lshlrev_b64 v[0:1], 3, v[4:5]
	s_addc_u32 s31, s43, -1
	s_add_u32 s2, s52, s54
	s_addc_u32 s3, s53, s55
	s_mov_b32 s40, s11
	s_add_u32 s2, s8, s2
	s_addc_u32 s3, s9, s3
	s_lshl_b64 s[52:53], s[40:41], 3
	v_add_co_u32 v5, vcc_lo, s2, v0
	v_cmp_gt_i32_e64 s1, s6, v4
	v_add_co_ci_u32_e64 v55, null, s3, v1, vcc_lo
	s_sub_u32 s77, 0, s52
	s_subb_u32 s78, 0, s53
	s_add_u32 s79, s73, -8
	s_mov_b32 s56, 0x667f3bcd
	s_addc_u32 s80, s74, -1
	s_mov_b32 s55, 0
	s_mov_b32 s57, 0x3ff6a09e
                                        ; implicit-def: $vgpr58
                                        ; implicit-def: $vgpr18_vgpr19
                                        ; implicit-def: $vgpr20_vgpr21
                                        ; implicit-def: $vgpr22_vgpr23
                                        ; implicit-def: $vgpr10_vgpr11
                                        ; implicit-def: $vgpr57
                                        ; implicit-def: $vgpr16_vgpr17
                                        ; implicit-def: $vgpr56
                                        ; implicit-def: $vgpr12_vgpr13
                                        ; implicit-def: $vgpr14_vgpr15
	s_branch .LBB12_7
.LBB12_4:                               ;   in Loop: Header=BB12_7 Depth=1
	s_or_b32 exec_lo, exec_lo, s3
.LBB12_5:                               ;   in Loop: Header=BB12_7 Depth=1
	s_waitcnt_vscnt null, 0x0
	s_barrier
	buffer_gl0_inv
.LBB12_6:                               ;   in Loop: Header=BB12_7 Depth=1
	ds_read2_b32 v[0:1], v6 offset0:6 offset1:9
	s_waitcnt lgkmcnt(0)
	v_cmp_gt_i32_e32 vcc_lo, s6, v0
	v_cmp_gt_i32_e64 s2, s33, v1
	v_readfirstlane_b32 s58, v0
	s_and_b32 s2, vcc_lo, s2
	s_andn2_b32 vcc_lo, exec_lo, s2
	s_cbranch_vccnz .LBB12_231
.LBB12_7:                               ; =>This Loop Header: Depth=1
                                        ;     Child Loop BB12_15 Depth 2
                                        ;     Child Loop BB12_28 Depth 2
	;; [unrolled: 1-line block ×5, first 2 shown]
                                        ;       Child Loop BB12_157 Depth 3
                                        ;       Child Loop BB12_177 Depth 3
	;; [unrolled: 1-line block ×3, first 2 shown]
                                        ;         Child Loop BB12_229 Depth 4
                                        ;     Child Loop BB12_68 Depth 2
                                        ;       Child Loop BB12_75 Depth 3
                                        ;       Child Loop BB12_95 Depth 3
	;; [unrolled: 1-line block ×3, first 2 shown]
                                        ;         Child Loop BB12_147 Depth 4
                                        ;     Child Loop BB12_58 Depth 2
                                        ;     Child Loop BB12_65 Depth 2
	s_and_saveexec_b32 s54, s0
	s_cbranch_execz .LBB12_31
; %bb.8:                                ;   in Loop: Header=BB12_7 Depth=1
	s_cmp_lt_i32 s58, 1
	s_cbranch_scc1 .LBB12_10
; %bb.9:                                ;   in Loop: Header=BB12_7 Depth=1
	s_mov_b32 s59, s55
	v_mov_b32_e32 v7, v6
	s_lshl_b64 s[2:3], s[58:59], 3
	s_add_u32 s2, s10, s2
	s_addc_u32 s3, s68, s3
	global_store_dwordx2 v6, v[6:7], s[2:3] offset:-8
.LBB12_10:                              ;   in Loop: Header=BB12_7 Depth=1
	s_mov_b32 s2, -1
	s_mov_b32 s64, 0
	s_cmp_lt_i32 s58, s36
	s_mov_b32 s81, 0
	s_cbranch_scc1 .LBB12_12
; %bb.11:                               ;   in Loop: Header=BB12_7 Depth=1
	s_ashr_i32 s59, s58, 31
	s_mov_b32 s2, 0
	s_mov_b32 s81, -1
.LBB12_12:                              ;   in Loop: Header=BB12_7 Depth=1
	s_andn2_b32 vcc_lo, exec_lo, s2
	s_cbranch_vccnz .LBB12_17
; %bb.13:                               ;   in Loop: Header=BB12_7 Depth=1
	s_ashr_i32 s59, s58, 31
	s_lshl_b64 s[2:3], s[58:59], 3
	s_mov_b64 s[64:65], s[58:59]
	s_add_u32 s66, s10, s2
	s_addc_u32 s67, s68, s3
	s_add_u32 s62, s75, s2
	s_addc_u32 s63, s76, s3
	s_branch .LBB12_15
.LBB12_14:                              ;   in Loop: Header=BB12_15 Depth=2
	s_andn2_b32 vcc_lo, exec_lo, s82
	s_cbranch_vccz .LBB12_18
.LBB12_15:                              ;   Parent Loop BB12_7 Depth=1
                                        ; =>  This Inner Loop Header: Depth=2
	s_clause 0x1
	global_load_dwordx4 v[0:3], v6, s[62:63] offset:-8
	global_load_dwordx2 v[18:19], v6, s[66:67]
	s_mov_b64 s[60:61], s[66:67]
	s_mov_b32 s82, -1
	s_waitcnt vmcnt(1)
	v_cmp_gt_f64_e64 s2, 0x10000000, |v[0:1]|
	v_cmp_gt_f64_e64 s3, 0x10000000, |v[2:3]|
	s_and_b32 s2, s2, exec_lo
	s_cselect_b32 s2, 0x100, 0
	s_cselect_b32 s37, 0xffffff80, 0
	s_and_b32 s3, s3, exec_lo
	s_cselect_b32 s3, 0x100, 0
	v_ldexp_f64 v[0:1], |v[0:1]|, s2
	v_ldexp_f64 v[2:3], |v[2:3]|, s3
	s_cselect_b32 s2, 0xffffff80, 0
	v_rsq_f64_e32 v[20:21], v[0:1]
	v_rsq_f64_e32 v[22:23], v[2:3]
	v_cmp_class_f64_e64 vcc_lo, v[0:1], 0x260
	v_mul_f64 v[24:25], v[0:1], v[20:21]
	v_mul_f64 v[20:21], v[20:21], 0.5
	v_mul_f64 v[26:27], v[2:3], v[22:23]
	v_mul_f64 v[22:23], v[22:23], 0.5
	v_fma_f64 v[28:29], -v[20:21], v[24:25], 0.5
	v_fma_f64 v[30:31], -v[22:23], v[26:27], 0.5
	v_fma_f64 v[24:25], v[24:25], v[28:29], v[24:25]
	v_fma_f64 v[20:21], v[20:21], v[28:29], v[20:21]
	;; [unrolled: 1-line block ×4, first 2 shown]
	v_fma_f64 v[28:29], -v[24:25], v[24:25], v[0:1]
	v_fma_f64 v[30:31], -v[26:27], v[26:27], v[2:3]
	v_fma_f64 v[24:25], v[28:29], v[20:21], v[24:25]
	v_fma_f64 v[26:27], v[30:31], v[22:23], v[26:27]
	v_fma_f64 v[28:29], -v[24:25], v[24:25], v[0:1]
	v_fma_f64 v[30:31], -v[26:27], v[26:27], v[2:3]
	v_fma_f64 v[20:21], v[28:29], v[20:21], v[24:25]
	v_fma_f64 v[22:23], v[30:31], v[22:23], v[26:27]
	v_ldexp_f64 v[20:21], v[20:21], s37
	s_mov_b32 s37, -1
	v_ldexp_f64 v[22:23], v[22:23], s2
	v_cmp_class_f64_e64 s2, v[2:3], 0x260
	v_cndmask_b32_e32 v1, v21, v1, vcc_lo
	v_cndmask_b32_e32 v0, v20, v0, vcc_lo
	v_cndmask_b32_e64 v3, v23, v3, s2
	v_cndmask_b32_e64 v2, v22, v2, s2
	s_mov_b64 s[2:3], s[64:65]
                                        ; implicit-def: $sgpr64_sgpr65
	v_mul_f64 v[0:1], v[0:1], v[2:3]
	v_mul_f64 v[0:1], s[24:25], v[0:1]
	s_waitcnt vmcnt(0)
	v_cmp_nle_f64_e64 s66, |v[18:19]|, v[0:1]
	s_and_b32 vcc_lo, exec_lo, s66
                                        ; implicit-def: $sgpr66_sgpr67
	s_cbranch_vccz .LBB12_14
; %bb.16:                               ;   in Loop: Header=BB12_15 Depth=2
	s_add_u32 s64, s2, 1
	s_addc_u32 s65, s3, 0
	s_add_u32 s66, s60, 8
	s_addc_u32 s67, s61, 0
	;; [unrolled: 2-line block ×3, first 2 shown]
	s_cmp_ge_i32 s64, s36
	s_mov_b32 s37, 0
	s_cselect_b32 s82, -1, 0
	s_branch .LBB12_14
.LBB12_17:                              ;   in Loop: Header=BB12_7 Depth=1
	s_mov_b32 s2, s58
	s_mov_b64 s[62:63], s[58:59]
	s_and_b32 vcc_lo, exec_lo, s81
	s_cbranch_vccnz .LBB12_21
	s_branch .LBB12_22
.LBB12_18:                              ;   in Loop: Header=BB12_7 Depth=1
	s_xor_b32 s37, s37, -1
	s_mov_b32 s64, -1
	s_and_b32 vcc_lo, exec_lo, s37
                                        ; implicit-def: $sgpr62_sgpr63
	s_cbranch_vccz .LBB12_20
; %bb.19:                               ;   in Loop: Header=BB12_7 Depth=1
	s_ashr_i32 s37, s36, 31
	s_mov_b32 s81, -1
	s_mov_b32 s64, 0
	s_mov_b64 s[62:63], s[36:37]
.LBB12_20:                              ;   in Loop: Header=BB12_7 Depth=1
	v_mov_b32_e32 v19, s3
	v_mov_b32_e32 v20, s60
	;; [unrolled: 1-line block ×7, first 2 shown]
	s_mov_b32 s2, s36
	s_and_b32 vcc_lo, exec_lo, s81
	s_cbranch_vccz .LBB12_22
.LBB12_21:                              ;   in Loop: Header=BB12_7 Depth=1
	v_mov_b32_e32 v0, s2
	ds_write_b32 v6, v0 offset:20
.LBB12_22:                              ;   in Loop: Header=BB12_7 Depth=1
	v_mov_b32_e32 v0, s58
	v_mov_b32_e32 v2, s62
	;; [unrolled: 1-line block ×5, first 2 shown]
	s_andn2_b32 vcc_lo, exec_lo, s64
	s_cbranch_vccnz .LBB12_24
; %bb.23:                               ;   in Loop: Header=BB12_7 Depth=1
	v_mov_b32_e32 v0, v22
	v_mov_b32_e32 v2, v18
	;; [unrolled: 1-line block ×6, first 2 shown]
	ds_write_b32 v6, v58 offset:20
	global_store_dwordx2 v[20:21], v[6:7], off
.LBB12_24:                              ;   in Loop: Header=BB12_7 Depth=1
	v_lshlrev_b64 v[2:3], 3, v[2:3]
	v_lshlrev_b64 v[24:25], 3, v[0:1]
	v_add_co_u32 v0, vcc_lo, s18, v2
	v_add_co_ci_u32_e64 v1, null, s19, v3, vcc_lo
	v_add_co_u32 v2, vcc_lo, s18, v24
	v_add_co_ci_u32_e64 v3, null, s19, v25, vcc_lo
	s_clause 0x1
	global_load_dwordx2 v[0:1], v[0:1], off
	global_load_dwordx2 v[2:3], v[2:3], off
	s_waitcnt vmcnt(0)
	v_cmp_lt_f64_e64 s3, |v[0:1]|, |v[2:3]|
	v_mov_b32_e32 v3, s58
	v_add_nc_u32_e32 v2, 1, v26
	ds_write_b32 v6, v3 offset:16
	ds_write2_b32 v6, v26, v26 offset0:8 offset1:10
	ds_write_b64 v6, v[2:3] offset:24
	s_and_saveexec_b32 s2, s3
; %bb.25:                               ;   in Loop: Header=BB12_7 Depth=1
	v_mov_b32_e32 v2, s58
	ds_write2_b32 v6, v26, v2 offset0:4 offset1:8
; %bb.26:                               ;   in Loop: Header=BB12_7 Depth=1
	s_or_b32 exec_lo, exec_lo, s2
	v_and_b32_e32 v1, 0x7fffffff, v1
	s_mov_b32 s3, exec_lo
	v_cmpx_lt_i32_e64 s58, v26
	s_cbranch_execz .LBB12_30
; %bb.27:                               ;   in Loop: Header=BB12_7 Depth=1
	v_add_co_u32 v2, vcc_lo, s73, v24
	v_add_co_ci_u32_e64 v3, null, s74, v25, vcc_lo
	v_add_co_u32 v24, vcc_lo, s10, v24
	v_add_co_ci_u32_e64 v25, null, s68, v25, vcc_lo
	s_mov_b32 s37, 0
	.p2align	6
.LBB12_28:                              ;   Parent Loop BB12_7 Depth=1
                                        ; =>  This Inner Loop Header: Depth=2
	global_load_dwordx2 v[27:28], v[24:25], off
	global_load_dwordx2 v[29:30], v[2:3], off
	v_max_f64 v[0:1], v[0:1], v[0:1]
	s_add_i32 s58, s58, 1
	v_add_co_u32 v2, vcc_lo, v2, 8
	v_add_co_ci_u32_e64 v3, null, 0, v3, vcc_lo
	v_cmp_ge_i32_e32 vcc_lo, s58, v26
	v_add_co_u32 v24, s2, v24, 8
	v_add_co_ci_u32_e64 v25, null, 0, v25, s2
	s_or_b32 s37, vcc_lo, s37
	s_waitcnt vmcnt(1)
	v_max_f64 v[27:28], |v[27:28]|, |v[27:28]|
	s_waitcnt vmcnt(0)
	v_max_f64 v[29:30], |v[29:30]|, |v[29:30]|
	v_max_f64 v[27:28], v[29:30], v[27:28]
	v_max_f64 v[0:1], v[0:1], v[27:28]
	s_andn2_b32 exec_lo, exec_lo, s37
	s_cbranch_execnz .LBB12_28
; %bb.29:                               ;   in Loop: Header=BB12_7 Depth=1
	s_or_b32 exec_lo, exec_lo, s37
.LBB12_30:                              ;   in Loop: Header=BB12_7 Depth=1
	s_or_b32 exec_lo, exec_lo, s3
	ds_write_b64 v6, v[0:1] offset:8
.LBB12_31:                              ;   in Loop: Header=BB12_7 Depth=1
	s_or_b32 exec_lo, exec_lo, s54
	s_waitcnt lgkmcnt(0)
	s_waitcnt_vscnt null, 0x0
	s_barrier
	buffer_gl0_inv
	ds_read_b64 v[0:1], v6 offset:8
	ds_read2_b32 v[2:3], v6 offset0:4 offset1:8
	s_waitcnt lgkmcnt(1)
	v_cmp_eq_f64_e32 vcc_lo, 0, v[0:1]
	s_waitcnt lgkmcnt(0)
	v_cmp_eq_u32_e64 s2, v3, v2
	s_or_b32 s2, s2, vcc_lo
	s_and_b32 vcc_lo, exec_lo, s2
	s_cbranch_vccnz .LBB12_6
; %bb.32:                               ;   in Loop: Header=BB12_7 Depth=1
	v_cmp_nlt_f64_e32 vcc_lo, s[4:5], v[0:1]
	s_mov_b32 s2, -1
	s_cbranch_vccz .LBB12_41
; %bb.33:                               ;   in Loop: Header=BB12_7 Depth=1
	v_cmp_ngt_f64_e32 vcc_lo, s[26:27], v[0:1]
	s_cbranch_vccnz .LBB12_40
; %bb.34:                               ;   in Loop: Header=BB12_7 Depth=1
	v_div_scale_f64 v[2:3], null, s[26:27], s[26:27], v[0:1]
	v_rcp_f64_e32 v[24:25], v[2:3]
	v_fma_f64 v[26:27], -v[2:3], v[24:25], 1.0
	v_fma_f64 v[24:25], v[24:25], v[26:27], v[24:25]
	v_fma_f64 v[26:27], -v[2:3], v[24:25], 1.0
	v_fma_f64 v[24:25], v[24:25], v[26:27], v[24:25]
	v_div_scale_f64 v[26:27], vcc_lo, v[0:1], s[26:27], v[0:1]
	v_mul_f64 v[28:29], v[26:27], v[24:25]
	v_fma_f64 v[2:3], -v[2:3], v[28:29], v[26:27]
	v_div_fmas_f64 v[2:3], v[2:3], v[24:25], v[28:29]
	ds_read2_b32 v[24:25], v6 offset0:7 offset1:10
	v_div_fixup_f64 v[2:3], v[2:3], s[26:27], v[0:1]
	s_and_saveexec_b32 s2, s0
	s_cbranch_execz .LBB12_36
; %bb.35:                               ;   in Loop: Header=BB12_7 Depth=1
	s_waitcnt lgkmcnt(0)
	v_ashrrev_i32_e32 v27, 31, v25
	v_mov_b32_e32 v26, v25
	v_lshlrev_b64 v[26:27], 3, v[26:27]
	v_add_co_u32 v26, vcc_lo, s18, v26
	v_add_co_ci_u32_e64 v27, null, s19, v27, vcc_lo
	global_load_dwordx2 v[28:29], v[26:27], off
	s_waitcnt vmcnt(0)
	v_mul_f64 v[28:29], v[2:3], v[28:29]
	global_store_dwordx2 v[26:27], v[28:29], off
.LBB12_36:                              ;   in Loop: Header=BB12_7 Depth=1
	s_or_b32 exec_lo, exec_lo, s2
	s_waitcnt lgkmcnt(0)
	v_add_nc_u32_e32 v26, v24, v4
	s_mov_b32 s3, exec_lo
	v_cmpx_lt_i32_e64 v26, v25
	s_cbranch_execz .LBB12_39
; %bb.37:                               ;   in Loop: Header=BB12_7 Depth=1
	v_ashrrev_i32_e32 v27, 31, v26
	s_mov_b32 s37, 0
	v_lshlrev_b64 v[27:28], 3, v[26:27]
	.p2align	6
.LBB12_38:                              ;   Parent Loop BB12_7 Depth=1
                                        ; =>  This Inner Loop Header: Depth=2
	v_add_co_u32 v29, vcc_lo, s18, v27
	v_add_co_ci_u32_e64 v30, null, s19, v28, vcc_lo
	v_add_co_u32 v33, vcc_lo, s10, v27
	v_add_co_ci_u32_e64 v34, null, s68, v28, vcc_lo
	global_load_dwordx2 v[31:32], v[29:30], off
	v_add_nc_u32_e32 v26, s30, v26
	v_add_co_u32 v27, s2, v27, s44
	v_add_co_ci_u32_e64 v28, null, s45, v28, s2
	v_cmp_ge_i32_e32 vcc_lo, v26, v25
	s_or_b32 s37, vcc_lo, s37
	s_waitcnt vmcnt(0)
	v_mul_f64 v[31:32], v[2:3], v[31:32]
	global_store_dwordx2 v[29:30], v[31:32], off
	global_load_dwordx2 v[29:30], v[33:34], off
	s_waitcnt vmcnt(0)
	v_mul_f64 v[29:30], v[2:3], v[29:30]
	global_store_dwordx2 v[33:34], v[29:30], off
	s_andn2_b32 exec_lo, exec_lo, s37
	s_cbranch_execnz .LBB12_38
.LBB12_39:                              ;   in Loop: Header=BB12_7 Depth=1
	s_or_b32 exec_lo, exec_lo, s3
.LBB12_40:                              ;   in Loop: Header=BB12_7 Depth=1
	s_mov_b32 s2, 0
.LBB12_41:                              ;   in Loop: Header=BB12_7 Depth=1
	s_andn2_b32 vcc_lo, exec_lo, s2
	s_cbranch_vccnz .LBB12_48
; %bb.42:                               ;   in Loop: Header=BB12_7 Depth=1
	v_div_scale_f64 v[2:3], null, s[4:5], s[4:5], v[0:1]
	v_rcp_f64_e32 v[24:25], v[2:3]
	v_fma_f64 v[26:27], -v[2:3], v[24:25], 1.0
	v_fma_f64 v[24:25], v[24:25], v[26:27], v[24:25]
	v_fma_f64 v[26:27], -v[2:3], v[24:25], 1.0
	v_fma_f64 v[24:25], v[24:25], v[26:27], v[24:25]
	v_div_scale_f64 v[26:27], vcc_lo, v[0:1], s[4:5], v[0:1]
	v_mul_f64 v[28:29], v[26:27], v[24:25]
	v_fma_f64 v[2:3], -v[2:3], v[28:29], v[26:27]
	v_div_fmas_f64 v[2:3], v[2:3], v[24:25], v[28:29]
	v_div_fixup_f64 v[0:1], v[2:3], s[4:5], v[0:1]
	ds_read2_b32 v[2:3], v6 offset0:7 offset1:10
	s_and_saveexec_b32 s2, s0
	s_cbranch_execz .LBB12_44
; %bb.43:                               ;   in Loop: Header=BB12_7 Depth=1
	s_waitcnt lgkmcnt(0)
	v_ashrrev_i32_e32 v25, 31, v3
	v_mov_b32_e32 v24, v3
	v_lshlrev_b64 v[24:25], 3, v[24:25]
	v_add_co_u32 v24, vcc_lo, s18, v24
	v_add_co_ci_u32_e64 v25, null, s19, v25, vcc_lo
	global_load_dwordx2 v[26:27], v[24:25], off
	s_waitcnt vmcnt(0)
	v_mul_f64 v[26:27], v[0:1], v[26:27]
	global_store_dwordx2 v[24:25], v[26:27], off
.LBB12_44:                              ;   in Loop: Header=BB12_7 Depth=1
	s_or_b32 exec_lo, exec_lo, s2
	s_waitcnt lgkmcnt(0)
	v_add_nc_u32_e32 v24, v2, v4
	s_mov_b32 s3, exec_lo
	v_cmpx_lt_i32_e64 v24, v3
	s_cbranch_execz .LBB12_47
; %bb.45:                               ;   in Loop: Header=BB12_7 Depth=1
	v_ashrrev_i32_e32 v25, 31, v24
	s_mov_b32 s37, 0
	v_lshlrev_b64 v[25:26], 3, v[24:25]
	.p2align	6
.LBB12_46:                              ;   Parent Loop BB12_7 Depth=1
                                        ; =>  This Inner Loop Header: Depth=2
	v_add_co_u32 v27, vcc_lo, s18, v25
	v_add_co_ci_u32_e64 v28, null, s19, v26, vcc_lo
	v_add_co_u32 v31, vcc_lo, s10, v25
	v_add_co_ci_u32_e64 v32, null, s68, v26, vcc_lo
	global_load_dwordx2 v[29:30], v[27:28], off
	v_add_nc_u32_e32 v24, s30, v24
	v_add_co_u32 v25, s2, v25, s44
	v_add_co_ci_u32_e64 v26, null, s45, v26, s2
	v_cmp_ge_i32_e32 vcc_lo, v24, v3
	s_or_b32 s37, vcc_lo, s37
	s_waitcnt vmcnt(0)
	v_mul_f64 v[29:30], v[0:1], v[29:30]
	global_store_dwordx2 v[27:28], v[29:30], off
	global_load_dwordx2 v[27:28], v[31:32], off
	s_waitcnt vmcnt(0)
	v_mul_f64 v[27:28], v[0:1], v[27:28]
	global_store_dwordx2 v[31:32], v[27:28], off
	s_andn2_b32 exec_lo, exec_lo, s37
	s_cbranch_execnz .LBB12_46
.LBB12_47:                              ;   in Loop: Header=BB12_7 Depth=1
	s_or_b32 exec_lo, exec_lo, s3
.LBB12_48:                              ;   in Loop: Header=BB12_7 Depth=1
	s_waitcnt_vscnt null, 0x0
	s_barrier
	buffer_gl0_inv
	ds_read_b64 v[26:27], v6 offset:32
	ds_read_b32 v24, v6 offset:16
	s_mov_b32 s37, -1
                                        ; implicit-def: $vgpr30_vgpr31
                                        ; implicit-def: $vgpr28_vgpr29
                                        ; implicit-def: $vgpr25
	s_waitcnt lgkmcnt(1)
	v_cmp_gt_i32_e64 s2, s33, v27
	s_waitcnt lgkmcnt(0)
	v_cmp_lt_i32_e32 vcc_lo, v26, v24
	v_cndmask_b32_e64 v0, 0, 1, s2
	v_cmp_ne_u32_e64 s3, 1, v0
	s_cbranch_vccnz .LBB12_51
; %bb.49:                               ;   in Loop: Header=BB12_7 Depth=1
	v_mov_b32_e32 v31, v15
	v_mov_b32_e32 v29, v13
	;; [unrolled: 1-line block ×8, first 2 shown]
	s_and_b32 vcc_lo, exec_lo, s3
	s_cbranch_vccz .LBB12_151
.LBB12_50:                              ;   in Loop: Header=BB12_7 Depth=1
	s_mov_b32 s37, 0
.LBB12_51:                              ;   in Loop: Header=BB12_7 Depth=1
	s_andn2_b32 vcc_lo, exec_lo, s37
	s_cbranch_vccz .LBB12_68
; %bb.52:                               ;   in Loop: Header=BB12_7 Depth=1
	v_mov_b32_e32 v12, v28
	v_mov_b32_e32 v14, v30
	;; [unrolled: 1-line block ×5, first 2 shown]
.LBB12_53:                              ;   in Loop: Header=BB12_7 Depth=1
	s_barrier
	buffer_gl0_inv
	ds_read_b64 v[0:1], v6 offset:8
	s_waitcnt lgkmcnt(0)
	v_cmp_nlt_f64_e32 vcc_lo, s[4:5], v[0:1]
	s_cbranch_vccnz .LBB12_60
; %bb.54:                               ;   in Loop: Header=BB12_7 Depth=1
	v_div_scale_f64 v[2:3], null, v[0:1], v[0:1], s[4:5]
	v_rcp_f64_e32 v[24:25], v[2:3]
	v_fma_f64 v[26:27], -v[2:3], v[24:25], 1.0
	v_fma_f64 v[24:25], v[24:25], v[26:27], v[24:25]
	v_fma_f64 v[26:27], -v[2:3], v[24:25], 1.0
	v_fma_f64 v[24:25], v[24:25], v[26:27], v[24:25]
	v_div_scale_f64 v[26:27], vcc_lo, s[4:5], v[0:1], s[4:5]
	v_mul_f64 v[28:29], v[26:27], v[24:25]
	v_fma_f64 v[2:3], -v[2:3], v[28:29], v[26:27]
	v_div_fmas_f64 v[2:3], v[2:3], v[24:25], v[28:29]
	ds_read2_b32 v[24:25], v6 offset0:7 offset1:10
	v_div_fixup_f64 v[2:3], v[2:3], v[0:1], s[4:5]
	s_and_saveexec_b32 s2, s0
	s_cbranch_execz .LBB12_56
; %bb.55:                               ;   in Loop: Header=BB12_7 Depth=1
	s_waitcnt lgkmcnt(0)
	v_ashrrev_i32_e32 v27, 31, v25
	v_mov_b32_e32 v26, v25
	v_lshlrev_b64 v[26:27], 3, v[26:27]
	v_add_co_u32 v26, vcc_lo, s18, v26
	v_add_co_ci_u32_e64 v27, null, s19, v27, vcc_lo
	global_load_dwordx2 v[28:29], v[26:27], off
	s_waitcnt vmcnt(0)
	v_mul_f64 v[28:29], v[2:3], v[28:29]
	global_store_dwordx2 v[26:27], v[28:29], off
.LBB12_56:                              ;   in Loop: Header=BB12_7 Depth=1
	s_or_b32 exec_lo, exec_lo, s2
	s_waitcnt lgkmcnt(0)
	v_add_nc_u32_e32 v26, v24, v4
	s_mov_b32 s3, exec_lo
	v_cmpx_lt_i32_e64 v26, v25
	s_cbranch_execz .LBB12_59
; %bb.57:                               ;   in Loop: Header=BB12_7 Depth=1
	v_ashrrev_i32_e32 v27, 31, v26
	s_mov_b32 s37, 0
	v_lshlrev_b64 v[27:28], 3, v[26:27]
	.p2align	6
.LBB12_58:                              ;   Parent Loop BB12_7 Depth=1
                                        ; =>  This Inner Loop Header: Depth=2
	v_add_co_u32 v29, vcc_lo, s18, v27
	v_add_co_ci_u32_e64 v30, null, s19, v28, vcc_lo
	v_add_co_u32 v33, vcc_lo, s10, v27
	v_add_co_ci_u32_e64 v34, null, s68, v28, vcc_lo
	global_load_dwordx2 v[31:32], v[29:30], off
	v_add_nc_u32_e32 v26, s30, v26
	v_add_co_u32 v27, s2, v27, s44
	v_add_co_ci_u32_e64 v28, null, s45, v28, s2
	v_cmp_ge_i32_e32 vcc_lo, v26, v25
	s_or_b32 s37, vcc_lo, s37
	s_waitcnt vmcnt(0)
	v_mul_f64 v[31:32], v[2:3], v[31:32]
	global_store_dwordx2 v[29:30], v[31:32], off
	global_load_dwordx2 v[29:30], v[33:34], off
	s_waitcnt vmcnt(0)
	v_mul_f64 v[29:30], v[2:3], v[29:30]
	global_store_dwordx2 v[33:34], v[29:30], off
	s_andn2_b32 exec_lo, exec_lo, s37
	s_cbranch_execnz .LBB12_58
.LBB12_59:                              ;   in Loop: Header=BB12_7 Depth=1
	s_or_b32 exec_lo, exec_lo, s3
.LBB12_60:                              ;   in Loop: Header=BB12_7 Depth=1
	v_cmp_ngt_f64_e32 vcc_lo, s[26:27], v[0:1]
	s_cbranch_vccnz .LBB12_5
; %bb.61:                               ;   in Loop: Header=BB12_7 Depth=1
	v_div_scale_f64 v[2:3], null, v[0:1], v[0:1], s[26:27]
	v_rcp_f64_e32 v[24:25], v[2:3]
	v_fma_f64 v[26:27], -v[2:3], v[24:25], 1.0
	v_fma_f64 v[24:25], v[24:25], v[26:27], v[24:25]
	v_fma_f64 v[26:27], -v[2:3], v[24:25], 1.0
	v_fma_f64 v[24:25], v[24:25], v[26:27], v[24:25]
	v_div_scale_f64 v[26:27], vcc_lo, s[26:27], v[0:1], s[26:27]
	v_mul_f64 v[28:29], v[26:27], v[24:25]
	v_fma_f64 v[2:3], -v[2:3], v[28:29], v[26:27]
	v_div_fmas_f64 v[2:3], v[2:3], v[24:25], v[28:29]
	v_div_fixup_f64 v[0:1], v[2:3], v[0:1], s[26:27]
	ds_read2_b32 v[2:3], v6 offset0:7 offset1:10
	s_and_saveexec_b32 s2, s0
	s_cbranch_execz .LBB12_63
; %bb.62:                               ;   in Loop: Header=BB12_7 Depth=1
	s_waitcnt lgkmcnt(0)
	v_ashrrev_i32_e32 v25, 31, v3
	v_mov_b32_e32 v24, v3
	v_lshlrev_b64 v[24:25], 3, v[24:25]
	v_add_co_u32 v24, vcc_lo, s18, v24
	v_add_co_ci_u32_e64 v25, null, s19, v25, vcc_lo
	global_load_dwordx2 v[26:27], v[24:25], off
	s_waitcnt vmcnt(0)
	v_mul_f64 v[26:27], v[0:1], v[26:27]
	global_store_dwordx2 v[24:25], v[26:27], off
.LBB12_63:                              ;   in Loop: Header=BB12_7 Depth=1
	s_or_b32 exec_lo, exec_lo, s2
	s_waitcnt lgkmcnt(0)
	v_add_nc_u32_e32 v24, v2, v4
	s_mov_b32 s3, exec_lo
	v_cmpx_lt_i32_e64 v24, v3
	s_cbranch_execz .LBB12_4
; %bb.64:                               ;   in Loop: Header=BB12_7 Depth=1
	v_ashrrev_i32_e32 v25, 31, v24
	s_mov_b32 s37, 0
	v_lshlrev_b64 v[25:26], 3, v[24:25]
	.p2align	6
.LBB12_65:                              ;   Parent Loop BB12_7 Depth=1
                                        ; =>  This Inner Loop Header: Depth=2
	v_add_co_u32 v27, vcc_lo, s18, v25
	v_add_co_ci_u32_e64 v28, null, s19, v26, vcc_lo
	v_add_co_u32 v31, vcc_lo, s10, v25
	v_add_co_ci_u32_e64 v32, null, s68, v26, vcc_lo
	global_load_dwordx2 v[29:30], v[27:28], off
	v_add_nc_u32_e32 v24, s30, v24
	v_add_co_u32 v25, s2, v25, s44
	v_add_co_ci_u32_e64 v26, null, s45, v26, s2
	v_cmp_ge_i32_e32 vcc_lo, v24, v3
	s_or_b32 s37, vcc_lo, s37
	s_waitcnt vmcnt(0)
	v_mul_f64 v[29:30], v[0:1], v[29:30]
	global_store_dwordx2 v[27:28], v[29:30], off
	global_load_dwordx2 v[27:28], v[31:32], off
	s_waitcnt vmcnt(0)
	v_mul_f64 v[27:28], v[0:1], v[27:28]
	global_store_dwordx2 v[31:32], v[27:28], off
	s_andn2_b32 exec_lo, exec_lo, s37
	s_cbranch_execnz .LBB12_65
	s_branch .LBB12_4
.LBB12_66:                              ;   in Loop: Header=BB12_68 Depth=2
	s_or_b32 exec_lo, exec_lo, s37
	s_waitcnt_vscnt null, 0x0
	s_barrier
	buffer_gl0_inv
	ds_read_b32 v24, v6 offset:16
.LBB12_67:                              ;   in Loop: Header=BB12_68 Depth=2
	ds_read_b64 v[26:27], v6 offset:32
	s_waitcnt lgkmcnt(0)
	v_cmp_ge_i32_e32 vcc_lo, v24, v26
	v_cmp_gt_i32_e64 s2, s33, v27
	s_and_b32 s2, vcc_lo, s2
.LBB12_68:                              ;   Parent Loop BB12_7 Depth=1
                                        ; =>  This Loop Header: Depth=2
                                        ;       Child Loop BB12_75 Depth 3
                                        ;       Child Loop BB12_95 Depth 3
	;; [unrolled: 1-line block ×3, first 2 shown]
                                        ;         Child Loop BB12_147 Depth 4
	s_andn2_b32 vcc_lo, exec_lo, s2
	s_cbranch_vccnz .LBB12_53
; %bb.69:                               ;   in Loop: Header=BB12_68 Depth=2
	s_and_saveexec_b32 s3, s0
	s_cbranch_execz .LBB12_142
; %bb.70:                               ;   in Loop: Header=BB12_68 Depth=2
	v_cmp_gt_i32_e32 vcc_lo, v24, v26
	s_mov_b32 s2, 0
	s_cbranch_vccnz .LBB12_72
; %bb.71:                               ;   in Loop: Header=BB12_68 Depth=2
	v_ashrrev_i32_e32 v25, 31, v24
	v_mov_b32_e32 v1, v24
	s_mov_b32 s37, -1
	v_mov_b32_e32 v2, v25
	v_mov_b32_e32 v0, v24
	s_cbranch_execz .LBB12_73
	s_branch .LBB12_78
.LBB12_72:                              ;   in Loop: Header=BB12_68 Depth=2
	s_mov_b32 s37, 0
                                        ; implicit-def: $vgpr1_vgpr2
	v_mov_b32_e32 v0, v24
.LBB12_73:                              ;   in Loop: Header=BB12_68 Depth=2
	v_ashrrev_i32_e32 v25, 31, v24
	v_mov_b32_e32 v2, v24
	v_lshlrev_b64 v[0:1], 3, v[24:25]
	v_add_co_u32 v10, vcc_lo, s10, v0
	v_add_co_ci_u32_e64 v11, null, s68, v1, vcc_lo
	v_add_co_u32 v0, vcc_lo, s79, v0
	v_add_co_ci_u32_e64 v1, null, s80, v1, vcc_lo
	s_branch .LBB12_75
	.p2align	6
.LBB12_74:                              ;   in Loop: Header=BB12_75 Depth=3
	v_add_nc_u32_e32 v2, -1, v57
	v_add_co_u32 v0, vcc_lo, v0, -8
	v_add_co_ci_u32_e64 v1, null, -1, v1, vcc_lo
	v_cmp_le_i32_e64 s37, v2, v26
	s_mov_b32 s2, 0
	v_add_co_u32 v10, vcc_lo, v10, -8
	v_add_co_ci_u32_e64 v11, null, -1, v11, vcc_lo
	s_andn2_b32 vcc_lo, exec_lo, s37
	s_cbranch_vccz .LBB12_77
.LBB12_75:                              ;   Parent Loop BB12_7 Depth=1
                                        ;     Parent Loop BB12_68 Depth=2
                                        ; =>    This Inner Loop Header: Depth=3
	global_load_dwordx4 v[28:31], v[0:1], off
	global_load_dwordx2 v[16:17], v[10:11], off offset:-8
	v_mov_b32_e32 v57, v2
	s_waitcnt vmcnt(1)
	v_mul_f64 v[28:29], v[30:31], v[28:29]
	s_waitcnt vmcnt(0)
	v_mul_f64 v[16:17], v[16:17], v[16:17]
	v_mul_f64 v[28:29], v[8:9], |v[28:29]|
	v_cmp_le_f64_e64 s2, |v[16:17]|, v[28:29]
	s_and_b32 vcc_lo, exec_lo, s2
	s_cbranch_vccz .LBB12_74
; %bb.76:                               ;   in Loop: Header=BB12_68 Depth=2
	s_mov_b32 s2, -1
                                        ; implicit-def: $vgpr2
                                        ; implicit-def: $vgpr0_vgpr1
	v_add_co_u32 v10, vcc_lo, v10, -8
	v_add_co_ci_u32_e64 v11, null, -1, v11, vcc_lo
.LBB12_77:                              ;   in Loop: Header=BB12_68 Depth=2
	v_mov_b32_e32 v16, v24
	v_mov_b32_e32 v1, v24
	;; [unrolled: 1-line block ×5, first 2 shown]
	s_xor_b32 s37, s2, -1
	s_mov_b32 s2, -1
.LBB12_78:                              ;   in Loop: Header=BB12_68 Depth=2
	s_and_b32 vcc_lo, exec_lo, s37
	s_cbranch_vccnz .LBB12_107
; %bb.79:                               ;   in Loop: Header=BB12_68 Depth=2
	s_andn2_b32 vcc_lo, exec_lo, s2
	s_cbranch_vccnz .LBB12_81
.LBB12_80:                              ;   in Loop: Header=BB12_68 Depth=2
	v_mov_b32_e32 v1, v16
	v_mov_b32_e32 v7, v6
	;; [unrolled: 1-line block ×4, first 2 shown]
	ds_write2_b32 v6, v57, v24 offset0:5 offset1:7
	global_store_dwordx2 v[10:11], v[6:7], off
.LBB12_81:                              ;   in Loop: Header=BB12_68 Depth=2
	v_lshlrev_b64 v[28:29], 3, v[1:2]
	v_add_nc_u32_e32 v1, -1, v24
	s_mov_b32 s2, exec_lo
	v_add_co_u32 v25, vcc_lo, s18, v28
	v_add_co_ci_u32_e64 v26, null, s19, v29, vcc_lo
	global_load_dwordx2 v[36:37], v[25:26], off
	s_waitcnt vmcnt(0)
	ds_write_b64 v6, v[36:37]
	v_cmpx_ne_u32_e64 v0, v24
	s_xor_b32 s37, exec_lo, s2
	s_cbranch_execz .LBB12_139
; %bb.82:                               ;   in Loop: Header=BB12_68 Depth=2
	s_mov_b32 s2, exec_lo
	v_cmpx_ne_u32_e64 v0, v1
	s_xor_b32 s54, exec_lo, s2
	s_cbranch_execz .LBB12_111
; %bb.83:                               ;   in Loop: Header=BB12_68 Depth=2
	v_add_co_u32 v2, vcc_lo, s10, v28
	v_add_co_ci_u32_e64 v3, null, s68, v29, vcc_lo
	s_mov_b32 s58, exec_lo
	global_load_dwordx2 v[28:29], v[25:26], off offset:-8
	global_load_dwordx2 v[30:31], v[2:3], off offset:-8
	s_waitcnt vmcnt(1)
	v_add_f64 v[28:29], v[28:29], -v[36:37]
	s_waitcnt vmcnt(0)
	v_add_f64 v[32:33], v[30:31], v[30:31]
	v_div_scale_f64 v[34:35], null, v[32:33], v[32:33], v[28:29]
	v_div_scale_f64 v[42:43], vcc_lo, v[28:29], v[32:33], v[28:29]
	v_rcp_f64_e32 v[38:39], v[34:35]
	v_fma_f64 v[40:41], -v[34:35], v[38:39], 1.0
	v_fma_f64 v[38:39], v[38:39], v[40:41], v[38:39]
	v_fma_f64 v[40:41], -v[34:35], v[38:39], 1.0
	v_fma_f64 v[38:39], v[38:39], v[40:41], v[38:39]
	v_mul_f64 v[40:41], v[42:43], v[38:39]
	v_fma_f64 v[34:35], -v[34:35], v[40:41], v[42:43]
	v_div_fmas_f64 v[34:35], v[34:35], v[38:39], v[40:41]
	v_div_fixup_f64 v[28:29], v[34:35], v[32:33], v[28:29]
	v_fma_f64 v[32:33], v[28:29], v[28:29], 1.0
	v_cmp_gt_f64_e32 vcc_lo, 0x10000000, v[32:33]
	v_cndmask_b32_e64 v1, 0, 0x100, vcc_lo
	v_ldexp_f64 v[32:33], v[32:33], v1
	v_ashrrev_i32_e32 v1, 31, v0
	v_rsq_f64_e32 v[34:35], v[32:33]
	v_mul_f64 v[38:39], v[32:33], v[34:35]
	v_mul_f64 v[34:35], v[34:35], 0.5
	v_fma_f64 v[40:41], -v[34:35], v[38:39], 0.5
	v_fma_f64 v[42:43], v[38:39], v[40:41], v[38:39]
	v_fma_f64 v[44:45], v[34:35], v[40:41], v[34:35]
	v_lshlrev_b64 v[38:39], 3, v[0:1]
	v_cndmask_b32_e64 v1, 0, 0xffffff80, vcc_lo
	v_cmp_class_f64_e64 vcc_lo, v[32:33], 0x260
	v_fma_f64 v[34:35], -v[42:43], v[42:43], v[32:33]
	v_fma_f64 v[42:43], v[34:35], v[44:45], v[42:43]
	v_add_co_u32 v34, s2, s18, v38
	v_add_co_ci_u32_e64 v35, null, s19, v39, s2
	global_load_dwordx2 v[40:41], v[34:35], off
	v_fma_f64 v[46:47], -v[42:43], v[42:43], v[32:33]
	v_fma_f64 v[42:43], v[46:47], v[44:45], v[42:43]
	v_ldexp_f64 v[42:43], v[42:43], v1
	v_cndmask_b32_e32 v1, v43, v33, vcc_lo
	v_cndmask_b32_e32 v32, v42, v32, vcc_lo
	v_cmp_nle_f64_e32 vcc_lo, 0, v[28:29]
	v_and_b32_e32 v7, 0x7fffffff, v1
	v_or_b32_e32 v1, 0x80000000, v1
	v_cndmask_b32_e32 v33, v7, v1, vcc_lo
	v_add_nc_u32_e32 v1, 1, v27
	v_mov_b32_e32 v7, v6
	ds_write_b32 v6, v1 offset:36
	ds_write_b64 v6, v[6:7]
	v_add_f64 v[28:29], v[28:29], v[32:33]
	v_div_scale_f64 v[32:33], null, v[28:29], v[28:29], v[30:31]
	v_rcp_f64_e32 v[42:43], v[32:33]
	v_fma_f64 v[44:45], -v[32:33], v[42:43], 1.0
	v_fma_f64 v[42:43], v[42:43], v[44:45], v[42:43]
	v_fma_f64 v[44:45], -v[32:33], v[42:43], 1.0
	v_fma_f64 v[42:43], v[42:43], v[44:45], v[42:43]
	v_div_scale_f64 v[44:45], vcc_lo, v[30:31], v[28:29], v[30:31]
	v_mul_f64 v[46:47], v[44:45], v[42:43]
	v_fma_f64 v[32:33], -v[32:33], v[46:47], v[44:45]
	v_div_fmas_f64 v[32:33], v[32:33], v[42:43], v[46:47]
	s_waitcnt vmcnt(0)
	v_add_f64 v[42:43], v[40:41], -v[36:37]
	v_div_fixup_f64 v[28:29], v[32:33], v[28:29], v[30:31]
	v_mov_b32_e32 v32, 0
	v_mov_b32_e32 v33, 0
	v_add_f64 v[28:29], v[42:43], v[28:29]
	v_cmpx_lt_i32_e64 v0, v24
	s_cbranch_execz .LBB12_110
; %bb.84:                               ;   in Loop: Header=BB12_68 Depth=2
	v_add_co_u32 v30, vcc_lo, s10, v38
	v_add_co_ci_u32_e64 v31, null, s68, v39, vcc_lo
	v_mov_b32_e32 v42, 0
	v_mov_b32_e32 v43, 0
	s_mov_b32 s2, exec_lo
	global_load_dwordx2 v[36:37], v[30:31], off
	v_mov_b32_e32 v30, 0
	v_mov_b32_e32 v31, 0x3ff00000
	s_waitcnt vmcnt(0)
	v_cmpx_neq_f64_e32 0, v[36:37]
	s_cbranch_execz .LBB12_92
; %bb.85:                               ;   in Loop: Header=BB12_68 Depth=2
	v_mov_b32_e32 v30, 0
	v_mov_b32_e32 v42, 0
	;; [unrolled: 1-line block ×4, first 2 shown]
	s_mov_b32 s59, exec_lo
	v_cmpx_neq_f64_e32 0, v[28:29]
	s_cbranch_execz .LBB12_91
; %bb.86:                               ;   in Loop: Header=BB12_68 Depth=2
	v_cmp_ngt_f64_e64 s60, |v[36:37]|, |v[28:29]|
                                        ; implicit-def: $vgpr42_vgpr43
                                        ; implicit-def: $vgpr30_vgpr31
	s_and_saveexec_b32 s61, s60
	s_xor_b32 s60, exec_lo, s61
	s_cbranch_execz .LBB12_88
; %bb.87:                               ;   in Loop: Header=BB12_68 Depth=2
	v_div_scale_f64 v[30:31], null, v[28:29], v[28:29], -v[36:37]
	v_div_scale_f64 v[44:45], vcc_lo, -v[36:37], v[28:29], -v[36:37]
	v_rcp_f64_e32 v[32:33], v[30:31]
	v_fma_f64 v[42:43], -v[30:31], v[32:33], 1.0
	v_fma_f64 v[32:33], v[32:33], v[42:43], v[32:33]
	v_fma_f64 v[42:43], -v[30:31], v[32:33], 1.0
	v_fma_f64 v[32:33], v[32:33], v[42:43], v[32:33]
	v_mul_f64 v[42:43], v[44:45], v[32:33]
	v_fma_f64 v[30:31], -v[30:31], v[42:43], v[44:45]
	v_div_fmas_f64 v[30:31], v[30:31], v[32:33], v[42:43]
	v_div_fixup_f64 v[27:28], v[30:31], v[28:29], -v[36:37]
	v_fma_f64 v[29:30], v[27:28], v[27:28], 1.0
	v_cmp_gt_f64_e32 vcc_lo, 0x10000000, v[29:30]
	v_cndmask_b32_e64 v1, 0, 0x100, vcc_lo
	v_ldexp_f64 v[29:30], v[29:30], v1
	v_cndmask_b32_e64 v1, 0, 0xffffff80, vcc_lo
	v_rsq_f64_e32 v[31:32], v[29:30]
	v_cmp_class_f64_e64 vcc_lo, v[29:30], 0x260
	v_mul_f64 v[42:43], v[29:30], v[31:32]
	v_mul_f64 v[31:32], v[31:32], 0.5
	v_fma_f64 v[44:45], -v[31:32], v[42:43], 0.5
	v_fma_f64 v[42:43], v[42:43], v[44:45], v[42:43]
	v_fma_f64 v[31:32], v[31:32], v[44:45], v[31:32]
	v_fma_f64 v[44:45], -v[42:43], v[42:43], v[29:30]
	v_fma_f64 v[42:43], v[44:45], v[31:32], v[42:43]
	v_fma_f64 v[44:45], -v[42:43], v[42:43], v[29:30]
	v_fma_f64 v[31:32], v[44:45], v[31:32], v[42:43]
	v_ldexp_f64 v[31:32], v[31:32], v1
	v_cndmask_b32_e32 v30, v32, v30, vcc_lo
	v_cndmask_b32_e32 v29, v31, v29, vcc_lo
	v_div_scale_f64 v[31:32], null, v[29:30], v[29:30], 1.0
	v_rcp_f64_e32 v[42:43], v[31:32]
	v_fma_f64 v[44:45], -v[31:32], v[42:43], 1.0
	v_fma_f64 v[42:43], v[42:43], v[44:45], v[42:43]
	v_fma_f64 v[44:45], -v[31:32], v[42:43], 1.0
	v_fma_f64 v[42:43], v[42:43], v[44:45], v[42:43]
	v_div_scale_f64 v[44:45], vcc_lo, 1.0, v[29:30], 1.0
	v_mul_f64 v[46:47], v[44:45], v[42:43]
	v_fma_f64 v[31:32], -v[31:32], v[46:47], v[44:45]
	v_div_fmas_f64 v[31:32], v[31:32], v[42:43], v[46:47]
	v_div_fixup_f64 v[30:31], v[31:32], v[29:30], 1.0
	v_mul_f64 v[42:43], v[27:28], v[30:31]
                                        ; implicit-def: $vgpr28_vgpr29
.LBB12_88:                              ;   in Loop: Header=BB12_68 Depth=2
	s_andn2_saveexec_b32 s60, s60
	s_cbranch_execz .LBB12_90
; %bb.89:                               ;   in Loop: Header=BB12_68 Depth=2
	v_div_scale_f64 v[30:31], null, v[36:37], v[36:37], -v[28:29]
	v_div_scale_f64 v[44:45], vcc_lo, -v[28:29], v[36:37], -v[28:29]
	v_rcp_f64_e32 v[32:33], v[30:31]
	v_fma_f64 v[42:43], -v[30:31], v[32:33], 1.0
	v_fma_f64 v[32:33], v[32:33], v[42:43], v[32:33]
	v_fma_f64 v[42:43], -v[30:31], v[32:33], 1.0
	v_fma_f64 v[32:33], v[32:33], v[42:43], v[32:33]
	v_mul_f64 v[42:43], v[44:45], v[32:33]
	v_fma_f64 v[30:31], -v[30:31], v[42:43], v[44:45]
	v_div_fmas_f64 v[30:31], v[30:31], v[32:33], v[42:43]
	v_div_fixup_f64 v[27:28], v[30:31], v[36:37], -v[28:29]
	v_fma_f64 v[29:30], v[27:28], v[27:28], 1.0
	v_cmp_gt_f64_e32 vcc_lo, 0x10000000, v[29:30]
	v_cndmask_b32_e64 v1, 0, 0x100, vcc_lo
	v_ldexp_f64 v[29:30], v[29:30], v1
	v_cndmask_b32_e64 v1, 0, 0xffffff80, vcc_lo
	v_rsq_f64_e32 v[31:32], v[29:30]
	v_cmp_class_f64_e64 vcc_lo, v[29:30], 0x260
	v_mul_f64 v[42:43], v[29:30], v[31:32]
	v_mul_f64 v[31:32], v[31:32], 0.5
	v_fma_f64 v[44:45], -v[31:32], v[42:43], 0.5
	v_fma_f64 v[42:43], v[42:43], v[44:45], v[42:43]
	v_fma_f64 v[31:32], v[31:32], v[44:45], v[31:32]
	v_fma_f64 v[44:45], -v[42:43], v[42:43], v[29:30]
	v_fma_f64 v[42:43], v[44:45], v[31:32], v[42:43]
	v_fma_f64 v[44:45], -v[42:43], v[42:43], v[29:30]
	v_fma_f64 v[31:32], v[44:45], v[31:32], v[42:43]
	v_ldexp_f64 v[31:32], v[31:32], v1
	v_cndmask_b32_e32 v30, v32, v30, vcc_lo
	v_cndmask_b32_e32 v29, v31, v29, vcc_lo
	v_div_scale_f64 v[31:32], null, v[29:30], v[29:30], 1.0
	v_rcp_f64_e32 v[42:43], v[31:32]
	v_fma_f64 v[44:45], -v[31:32], v[42:43], 1.0
	v_fma_f64 v[42:43], v[42:43], v[44:45], v[42:43]
	v_fma_f64 v[44:45], -v[31:32], v[42:43], 1.0
	v_fma_f64 v[42:43], v[42:43], v[44:45], v[42:43]
	v_div_scale_f64 v[44:45], vcc_lo, 1.0, v[29:30], 1.0
	v_mul_f64 v[46:47], v[44:45], v[42:43]
	v_fma_f64 v[31:32], -v[31:32], v[46:47], v[44:45]
	v_div_fmas_f64 v[31:32], v[31:32], v[42:43], v[46:47]
	v_div_fixup_f64 v[42:43], v[31:32], v[29:30], 1.0
	v_mul_f64 v[30:31], v[27:28], v[42:43]
.LBB12_90:                              ;   in Loop: Header=BB12_68 Depth=2
	s_or_b32 exec_lo, exec_lo, s60
.LBB12_91:                              ;   in Loop: Header=BB12_68 Depth=2
	s_or_b32 exec_lo, exec_lo, s59
.LBB12_92:                              ;   in Loop: Header=BB12_68 Depth=2
	s_or_b32 exec_lo, exec_lo, s2
	global_load_dwordx2 v[27:28], v[34:35], off offset:8
	v_add_f64 v[32:33], v[30:31], v[30:31]
	s_mov_b32 s59, exec_lo
	s_waitcnt vmcnt(0)
	v_add_f64 v[27:28], v[27:28], -v[40:41]
	v_mul_f64 v[27:28], v[42:43], v[27:28]
	v_fma_f64 v[27:28], v[36:37], v[32:33], -v[27:28]
	v_mul_f64 v[32:33], v[27:28], -v[42:43]
	v_fma_f64 v[40:41], v[27:28], -v[42:43], v[40:41]
	v_fma_f64 v[28:29], v[30:31], v[27:28], -v[36:37]
	v_add_co_u32 v37, vcc_lo, s71, v38
	v_add_co_ci_u32_e64 v38, null, s72, v39, vcc_lo
	v_xor_b32_e32 v43, 0x80000000, v43
	v_add_nc_u32_e32 v36, 1, v0
	v_add_co_u32 v44, vcc_lo, v37, s42
	v_add_co_ci_u32_e64 v45, null, s43, v38, vcc_lo
	ds_write_b64 v6, v[32:33]
	global_store_dwordx2 v[34:35], v[40:41], off
	global_store_dwordx2 v[37:38], v[30:31], off
	global_store_dwordx2 v[44:45], v[42:43], off offset:-8
	v_cmpx_lt_i32_e64 v36, v24
	s_cbranch_execz .LBB12_109
; %bb.93:                               ;   in Loop: Header=BB12_68 Depth=2
	v_ashrrev_i32_e32 v37, 31, v36
	s_mov_b32 s61, 1
	s_mov_b32 s60, 0
	v_lshlrev_b64 v[38:39], 3, v[36:37]
	v_add_co_u32 v34, vcc_lo, s71, v38
	v_add_co_ci_u32_e64 v35, null, s72, v39, vcc_lo
	v_add_co_u32 v36, vcc_lo, s50, v38
	v_add_co_ci_u32_e64 v37, null, s51, v39, vcc_lo
	;; [unrolled: 2-line block ×3, first 2 shown]
	s_branch .LBB12_95
.LBB12_94:                              ;   in Loop: Header=BB12_95 Depth=3
	global_load_dwordx4 v[48:51], v[38:39], off
	v_mul_f64 v[29:30], v[30:31], v[40:41]
	v_add_f64 v[40:41], v[44:45], v[44:45]
	v_add_co_u32 v36, vcc_lo, v36, 8
	v_add_co_ci_u32_e64 v37, null, 0, v37, vcc_lo
	s_add_i32 s61, s61, 1
	v_xor_b32_e32 v43, 0x80000000, v47
	v_add_nc_u32_e32 v1, s61, v0
	v_mov_b32_e32 v42, v46
	s_waitcnt vmcnt(0)
	v_add_f64 v[27:28], v[48:49], -v[32:33]
	v_add_f64 v[32:33], v[50:51], -v[27:28]
	v_mul_f64 v[31:32], v[46:47], v[32:33]
	v_fma_f64 v[40:41], v[29:30], v[40:41], -v[31:32]
	v_fma_f64 v[48:49], v[40:41], -v[46:47], v[27:28]
	v_mul_f64 v[32:33], v[40:41], -v[46:47]
	v_fma_f64 v[28:29], v[44:45], v[40:41], -v[29:30]
	v_add_co_u32 v30, vcc_lo, v38, 8
	v_add_co_ci_u32_e64 v31, null, 0, v39, vcc_lo
	v_add_co_u32 v40, vcc_lo, v34, s7
	v_add_co_ci_u32_e64 v41, null, s31, v35, vcc_lo
	v_cmp_ge_i32_e32 vcc_lo, v1, v24
	global_store_dwordx2 v[38:39], v[48:49], off
	global_store_dwordx2 v[34:35], v[44:45], off
	v_add_co_u32 v34, s2, v34, 8
	v_mov_b32_e32 v39, v31
	v_mov_b32_e32 v38, v30
	;; [unrolled: 1-line block ×3, first 2 shown]
	v_add_co_ci_u32_e64 v35, null, 0, v35, s2
	v_mov_b32_e32 v31, v45
	s_or_b32 s60, vcc_lo, s60
	global_store_dwordx2 v[40:41], v[42:43], off
	s_andn2_b32 exec_lo, exec_lo, s60
	s_cbranch_execz .LBB12_108
.LBB12_95:                              ;   Parent Loop BB12_7 Depth=1
                                        ;     Parent Loop BB12_68 Depth=2
                                        ; =>    This Inner Loop Header: Depth=3
	global_load_dwordx2 v[40:41], v[36:37], off offset:8
	v_mov_b32_e32 v46, 0
	v_mov_b32_e32 v44, 0
	;; [unrolled: 1-line block ×4, first 2 shown]
	s_mov_b32 s2, exec_lo
	s_waitcnt vmcnt(0)
	v_mul_f64 v[42:43], v[42:43], v[40:41]
	v_cmpx_neq_f64_e32 0, v[42:43]
	s_cbranch_execz .LBB12_105
; %bb.96:                               ;   in Loop: Header=BB12_95 Depth=3
	v_xor_b32_e32 v49, 0x80000000, v43
	v_mov_b32_e32 v48, v42
	s_mov_b32 s62, exec_lo
                                        ; implicit-def: $vgpr46_vgpr47
                                        ; implicit-def: $vgpr44_vgpr45
	v_cmpx_neq_f64_e32 0, v[28:29]
	s_xor_b32 s62, exec_lo, s62
	s_cbranch_execz .LBB12_102
; %bb.97:                               ;   in Loop: Header=BB12_95 Depth=3
	v_cmp_ngt_f64_e64 s63, |v[42:43]|, |v[28:29]|
                                        ; implicit-def: $vgpr46_vgpr47
                                        ; implicit-def: $vgpr44_vgpr45
	s_and_saveexec_b32 s64, s63
	s_xor_b32 s63, exec_lo, s64
	s_cbranch_execz .LBB12_99
; %bb.98:                               ;   in Loop: Header=BB12_95 Depth=3
	v_div_scale_f64 v[44:45], null, v[28:29], v[28:29], -v[42:43]
	v_div_scale_f64 v[50:51], vcc_lo, -v[42:43], v[28:29], -v[42:43]
	v_rcp_f64_e32 v[46:47], v[44:45]
	v_fma_f64 v[48:49], -v[44:45], v[46:47], 1.0
	v_fma_f64 v[46:47], v[46:47], v[48:49], v[46:47]
	v_fma_f64 v[48:49], -v[44:45], v[46:47], 1.0
	v_fma_f64 v[46:47], v[46:47], v[48:49], v[46:47]
	v_mul_f64 v[48:49], v[50:51], v[46:47]
	v_fma_f64 v[44:45], -v[44:45], v[48:49], v[50:51]
	v_div_fmas_f64 v[44:45], v[44:45], v[46:47], v[48:49]
	v_div_fixup_f64 v[46:47], v[44:45], v[28:29], -v[42:43]
	v_fma_f64 v[44:45], v[46:47], v[46:47], 1.0
	v_cmp_gt_f64_e32 vcc_lo, 0x10000000, v[44:45]
	v_cndmask_b32_e64 v1, 0, 0x100, vcc_lo
	v_ldexp_f64 v[44:45], v[44:45], v1
	v_cndmask_b32_e64 v1, 0, 0xffffff80, vcc_lo
	v_rsq_f64_e32 v[48:49], v[44:45]
	v_cmp_class_f64_e64 vcc_lo, v[44:45], 0x260
	v_mul_f64 v[50:51], v[44:45], v[48:49]
	v_mul_f64 v[48:49], v[48:49], 0.5
	v_fma_f64 v[52:53], -v[48:49], v[50:51], 0.5
	v_fma_f64 v[50:51], v[50:51], v[52:53], v[50:51]
	v_fma_f64 v[48:49], v[48:49], v[52:53], v[48:49]
	v_fma_f64 v[52:53], -v[50:51], v[50:51], v[44:45]
	v_fma_f64 v[50:51], v[52:53], v[48:49], v[50:51]
	v_fma_f64 v[52:53], -v[50:51], v[50:51], v[44:45]
	v_fma_f64 v[48:49], v[52:53], v[48:49], v[50:51]
	v_ldexp_f64 v[48:49], v[48:49], v1
	v_cndmask_b32_e32 v45, v49, v45, vcc_lo
	v_cndmask_b32_e32 v44, v48, v44, vcc_lo
	v_div_scale_f64 v[48:49], null, v[44:45], v[44:45], 1.0
	v_rcp_f64_e32 v[50:51], v[48:49]
	v_fma_f64 v[52:53], -v[48:49], v[50:51], 1.0
	v_fma_f64 v[50:51], v[50:51], v[52:53], v[50:51]
	v_fma_f64 v[52:53], -v[48:49], v[50:51], 1.0
	v_fma_f64 v[50:51], v[50:51], v[52:53], v[50:51]
	v_div_scale_f64 v[52:53], vcc_lo, 1.0, v[44:45], 1.0
	v_mul_f64 v[59:60], v[52:53], v[50:51]
	v_fma_f64 v[48:49], -v[48:49], v[59:60], v[52:53]
	v_div_fmas_f64 v[48:49], v[48:49], v[50:51], v[59:60]
	v_div_fixup_f64 v[44:45], v[48:49], v[44:45], 1.0
	v_mul_f64 v[46:47], v[46:47], v[44:45]
.LBB12_99:                              ;   in Loop: Header=BB12_95 Depth=3
	s_andn2_saveexec_b32 s63, s63
	s_cbranch_execz .LBB12_101
; %bb.100:                              ;   in Loop: Header=BB12_95 Depth=3
	v_div_scale_f64 v[44:45], null, v[42:43], v[42:43], -v[28:29]
	v_div_scale_f64 v[50:51], vcc_lo, -v[28:29], v[42:43], -v[28:29]
	v_rcp_f64_e32 v[46:47], v[44:45]
	v_fma_f64 v[48:49], -v[44:45], v[46:47], 1.0
	v_fma_f64 v[46:47], v[46:47], v[48:49], v[46:47]
	v_fma_f64 v[48:49], -v[44:45], v[46:47], 1.0
	v_fma_f64 v[46:47], v[46:47], v[48:49], v[46:47]
	v_mul_f64 v[48:49], v[50:51], v[46:47]
	v_fma_f64 v[44:45], -v[44:45], v[48:49], v[50:51]
	v_div_fmas_f64 v[44:45], v[44:45], v[46:47], v[48:49]
	v_div_fixup_f64 v[44:45], v[44:45], v[42:43], -v[28:29]
	v_fma_f64 v[46:47], v[44:45], v[44:45], 1.0
	v_cmp_gt_f64_e32 vcc_lo, 0x10000000, v[46:47]
	v_cndmask_b32_e64 v1, 0, 0x100, vcc_lo
	v_ldexp_f64 v[46:47], v[46:47], v1
	v_cndmask_b32_e64 v1, 0, 0xffffff80, vcc_lo
	v_rsq_f64_e32 v[48:49], v[46:47]
	v_cmp_class_f64_e64 vcc_lo, v[46:47], 0x260
	v_mul_f64 v[50:51], v[46:47], v[48:49]
	v_mul_f64 v[48:49], v[48:49], 0.5
	v_fma_f64 v[52:53], -v[48:49], v[50:51], 0.5
	v_fma_f64 v[50:51], v[50:51], v[52:53], v[50:51]
	v_fma_f64 v[48:49], v[48:49], v[52:53], v[48:49]
	v_fma_f64 v[52:53], -v[50:51], v[50:51], v[46:47]
	v_fma_f64 v[50:51], v[52:53], v[48:49], v[50:51]
	v_fma_f64 v[52:53], -v[50:51], v[50:51], v[46:47]
	v_fma_f64 v[48:49], v[52:53], v[48:49], v[50:51]
	v_ldexp_f64 v[48:49], v[48:49], v1
	v_cndmask_b32_e32 v47, v49, v47, vcc_lo
	v_cndmask_b32_e32 v46, v48, v46, vcc_lo
	v_div_scale_f64 v[48:49], null, v[46:47], v[46:47], 1.0
	v_rcp_f64_e32 v[50:51], v[48:49]
	v_fma_f64 v[52:53], -v[48:49], v[50:51], 1.0
	v_fma_f64 v[50:51], v[50:51], v[52:53], v[50:51]
	v_fma_f64 v[52:53], -v[48:49], v[50:51], 1.0
	v_fma_f64 v[50:51], v[50:51], v[52:53], v[50:51]
	v_div_scale_f64 v[52:53], vcc_lo, 1.0, v[46:47], 1.0
	v_mul_f64 v[59:60], v[52:53], v[50:51]
	v_fma_f64 v[48:49], -v[48:49], v[59:60], v[52:53]
	v_div_fmas_f64 v[48:49], v[48:49], v[50:51], v[59:60]
	v_div_fixup_f64 v[46:47], v[48:49], v[46:47], 1.0
	v_mul_f64 v[44:45], v[44:45], v[46:47]
.LBB12_101:                             ;   in Loop: Header=BB12_95 Depth=3
	s_or_b32 exec_lo, exec_lo, s63
	v_mul_f64 v[42:43], v[42:43], v[46:47]
	v_fma_f64 v[48:49], v[28:29], v[44:45], -v[42:43]
.LBB12_102:                             ;   in Loop: Header=BB12_95 Depth=3
	s_andn2_saveexec_b32 s62, s62
; %bb.103:                              ;   in Loop: Header=BB12_95 Depth=3
	v_mov_b32_e32 v44, 0
	v_mov_b32_e32 v46, 0
	;; [unrolled: 1-line block ×4, first 2 shown]
; %bb.104:                              ;   in Loop: Header=BB12_95 Depth=3
	s_or_b32 exec_lo, exec_lo, s62
	v_mov_b32_e32 v28, v48
	v_mov_b32_e32 v29, v49
.LBB12_105:                             ;   in Loop: Header=BB12_95 Depth=3
	s_or_b32 exec_lo, exec_lo, s2
	s_cmp_eq_u32 s61, 0
	s_cbranch_scc1 .LBB12_94
; %bb.106:                              ;   in Loop: Header=BB12_95 Depth=3
	global_store_dwordx2 v[36:37], v[28:29], off
	s_branch .LBB12_94
.LBB12_107:                             ;   in Loop: Header=BB12_68 Depth=2
	ds_write2_b32 v6, v0, v24 offset0:5 offset1:7
	s_cbranch_execz .LBB12_80
	s_branch .LBB12_81
.LBB12_108:                             ;   in Loop: Header=BB12_68 Depth=2
	s_or_b32 exec_lo, exec_lo, s60
	ds_write_b64 v6, v[32:33]
.LBB12_109:                             ;   in Loop: Header=BB12_68 Depth=2
	s_or_b32 exec_lo, exec_lo, s59
	global_load_dwordx2 v[36:37], v[25:26], off
.LBB12_110:                             ;   in Loop: Header=BB12_68 Depth=2
	s_or_b32 exec_lo, exec_lo, s58
	s_waitcnt vmcnt(0)
	v_add_f64 v[0:1], v[36:37], -v[32:33]
                                        ; implicit-def: $vgpr24
                                        ; implicit-def: $vgpr36_vgpr37
	global_store_dwordx2 v[25:26], v[0:1], off
	global_store_dwordx2 v[2:3], v[28:29], off offset:-8
                                        ; implicit-def: $vgpr25_vgpr26
                                        ; implicit-def: $vgpr28_vgpr29
                                        ; implicit-def: $vgpr0
.LBB12_111:                             ;   in Loop: Header=BB12_68 Depth=2
	s_andn2_saveexec_b32 s54, s54
	s_cbranch_execz .LBB12_148
; %bb.112:                              ;   in Loop: Header=BB12_68 Depth=2
	v_ashrrev_i32_e32 v1, 31, v0
                                        ; implicit-def: $vgpr40_vgpr41
	v_lshlrev_b64 v[30:31], 3, v[0:1]
	v_add_co_u32 v0, vcc_lo, s18, v30
	v_add_co_ci_u32_e64 v1, null, s19, v31, vcc_lo
	v_add_co_u32 v2, vcc_lo, s10, v30
	v_add_co_ci_u32_e64 v3, null, s68, v31, vcc_lo
	global_load_dwordx2 v[0:1], v[0:1], off
	global_load_dwordx2 v[38:39], v[2:3], off
	s_waitcnt vmcnt(1)
	v_add_f64 v[34:35], v[0:1], -v[36:37]
	s_waitcnt vmcnt(0)
	v_add_f64 v[32:33], v[38:39], v[38:39]
	v_cmp_ngt_f64_e64 s2, |v[34:35]|, |v[32:33]|
	s_and_saveexec_b32 s58, s2
	s_xor_b32 s2, exec_lo, s58
	s_cbranch_execz .LBB12_118
; %bb.113:                              ;   in Loop: Header=BB12_68 Depth=2
	v_cmp_nlt_f64_e64 s58, |v[34:35]|, |v[32:33]|
                                        ; implicit-def: $vgpr40_vgpr41
	s_and_saveexec_b32 s59, s58
	s_xor_b32 s58, exec_lo, s59
; %bb.114:                              ;   in Loop: Header=BB12_68 Depth=2
	v_mul_f64 v[40:41], |v[32:33]|, s[56:57]
; %bb.115:                              ;   in Loop: Header=BB12_68 Depth=2
	s_andn2_saveexec_b32 s58, s58
	s_cbranch_execz .LBB12_117
; %bb.116:                              ;   in Loop: Header=BB12_68 Depth=2
	v_and_b32_e32 v3, 0x7fffffff, v35
	v_mov_b32_e32 v2, v34
	v_and_b32_e32 v41, 0x7fffffff, v33
	v_mov_b32_e32 v40, v32
	v_div_scale_f64 v[42:43], null, v[40:41], v[40:41], v[2:3]
	v_div_scale_f64 v[2:3], vcc_lo, v[2:3], v[40:41], v[2:3]
	v_rcp_f64_e32 v[44:45], v[42:43]
	v_fma_f64 v[46:47], -v[42:43], v[44:45], 1.0
	v_fma_f64 v[44:45], v[44:45], v[46:47], v[44:45]
	v_fma_f64 v[46:47], -v[42:43], v[44:45], 1.0
	v_fma_f64 v[40:41], v[44:45], v[46:47], v[44:45]
	v_mul_f64 v[44:45], v[2:3], v[40:41]
	v_fma_f64 v[2:3], -v[42:43], v[44:45], v[2:3]
	v_div_fmas_f64 v[2:3], v[2:3], v[40:41], v[44:45]
	v_div_fixup_f64 v[2:3], v[2:3], |v[32:33]|, |v[34:35]|
	v_fma_f64 v[2:3], v[2:3], v[2:3], 1.0
	v_cmp_gt_f64_e32 vcc_lo, 0x10000000, v[2:3]
	v_cndmask_b32_e64 v7, 0, 0x100, vcc_lo
	v_ldexp_f64 v[2:3], v[2:3], v7
	v_cndmask_b32_e64 v7, 0, 0xffffff80, vcc_lo
	v_rsq_f64_e32 v[40:41], v[2:3]
	v_cmp_class_f64_e64 vcc_lo, v[2:3], 0x260
	v_mul_f64 v[42:43], v[2:3], v[40:41]
	v_mul_f64 v[40:41], v[40:41], 0.5
	v_fma_f64 v[44:45], -v[40:41], v[42:43], 0.5
	v_fma_f64 v[42:43], v[42:43], v[44:45], v[42:43]
	v_fma_f64 v[40:41], v[40:41], v[44:45], v[40:41]
	v_fma_f64 v[44:45], -v[42:43], v[42:43], v[2:3]
	v_fma_f64 v[42:43], v[44:45], v[40:41], v[42:43]
	v_fma_f64 v[44:45], -v[42:43], v[42:43], v[2:3]
	v_fma_f64 v[40:41], v[44:45], v[40:41], v[42:43]
	v_ldexp_f64 v[40:41], v[40:41], v7
	v_cndmask_b32_e32 v3, v41, v3, vcc_lo
	v_cndmask_b32_e32 v2, v40, v2, vcc_lo
	v_mul_f64 v[40:41], |v[32:33]|, v[2:3]
.LBB12_117:                             ;   in Loop: Header=BB12_68 Depth=2
	s_or_b32 exec_lo, exec_lo, s58
.LBB12_118:                             ;   in Loop: Header=BB12_68 Depth=2
	s_andn2_saveexec_b32 s2, s2
	s_cbranch_execz .LBB12_120
; %bb.119:                              ;   in Loop: Header=BB12_68 Depth=2
	v_and_b32_e32 v3, 0x7fffffff, v33
	v_mov_b32_e32 v2, v32
	v_and_b32_e32 v41, 0x7fffffff, v35
	v_mov_b32_e32 v40, v34
	v_div_scale_f64 v[42:43], null, v[40:41], v[40:41], v[2:3]
	v_div_scale_f64 v[2:3], vcc_lo, v[2:3], v[40:41], v[2:3]
	v_rcp_f64_e32 v[44:45], v[42:43]
	v_fma_f64 v[46:47], -v[42:43], v[44:45], 1.0
	v_fma_f64 v[44:45], v[44:45], v[46:47], v[44:45]
	v_fma_f64 v[46:47], -v[42:43], v[44:45], 1.0
	v_fma_f64 v[40:41], v[44:45], v[46:47], v[44:45]
	v_mul_f64 v[44:45], v[2:3], v[40:41]
	v_fma_f64 v[2:3], -v[42:43], v[44:45], v[2:3]
	v_div_fmas_f64 v[2:3], v[2:3], v[40:41], v[44:45]
	v_div_fixup_f64 v[2:3], v[2:3], |v[34:35]|, |v[32:33]|
	v_fma_f64 v[2:3], v[2:3], v[2:3], 1.0
	v_cmp_gt_f64_e32 vcc_lo, 0x10000000, v[2:3]
	v_cndmask_b32_e64 v7, 0, 0x100, vcc_lo
	v_ldexp_f64 v[2:3], v[2:3], v7
	v_cndmask_b32_e64 v7, 0, 0xffffff80, vcc_lo
	v_rsq_f64_e32 v[40:41], v[2:3]
	v_cmp_class_f64_e64 vcc_lo, v[2:3], 0x260
	v_mul_f64 v[42:43], v[2:3], v[40:41]
	v_mul_f64 v[40:41], v[40:41], 0.5
	v_fma_f64 v[44:45], -v[40:41], v[42:43], 0.5
	v_fma_f64 v[42:43], v[42:43], v[44:45], v[42:43]
	v_fma_f64 v[40:41], v[40:41], v[44:45], v[40:41]
	v_fma_f64 v[44:45], -v[42:43], v[42:43], v[2:3]
	v_fma_f64 v[42:43], v[44:45], v[40:41], v[42:43]
	v_fma_f64 v[44:45], -v[42:43], v[42:43], v[2:3]
	v_fma_f64 v[40:41], v[44:45], v[40:41], v[42:43]
	v_ldexp_f64 v[40:41], v[40:41], v7
	v_cndmask_b32_e32 v3, v41, v3, vcc_lo
	v_cndmask_b32_e32 v2, v40, v2, vcc_lo
	v_mul_f64 v[40:41], |v[34:35]|, v[2:3]
.LBB12_120:                             ;   in Loop: Header=BB12_68 Depth=2
	s_or_b32 exec_lo, exec_lo, s2
	v_cmp_gt_f64_e64 vcc_lo, |v[0:1]|, |v[36:37]|
	v_add_f64 v[44:45], v[36:37], v[0:1]
	s_mov_b32 s58, exec_lo
	v_cndmask_b32_e32 v43, v1, v37, vcc_lo
	v_cndmask_b32_e32 v42, v0, v36, vcc_lo
	;; [unrolled: 1-line block ×4, first 2 shown]
                                        ; implicit-def: $vgpr2_vgpr3
	v_cmpx_ngt_f64_e32 0, v[44:45]
	s_xor_b32 s58, exec_lo, s58
	s_cbranch_execz .LBB12_126
; %bb.121:                              ;   in Loop: Header=BB12_68 Depth=2
	s_mov_b32 s2, exec_lo
                                        ; implicit-def: $vgpr2_vgpr3
	v_cmpx_nlt_f64_e32 0, v[44:45]
	s_xor_b32 s2, exec_lo, s2
	s_cbranch_execz .LBB12_123
; %bb.122:                              ;   in Loop: Header=BB12_68 Depth=2
	v_mul_f64 v[0:1], v[40:41], 0.5
	v_mul_f64 v[2:3], v[40:41], -0.5
                                        ; implicit-def: $vgpr44_vgpr45
                                        ; implicit-def: $vgpr36_vgpr37
                                        ; implicit-def: $vgpr38_vgpr39
                                        ; implicit-def: $vgpr42_vgpr43
.LBB12_123:                             ;   in Loop: Header=BB12_68 Depth=2
	s_andn2_saveexec_b32 s59, s2
	s_cbranch_execz .LBB12_125
; %bb.124:                              ;   in Loop: Header=BB12_68 Depth=2
	v_add_f64 v[0:1], v[44:45], v[40:41]
	v_mul_f64 v[0:1], v[0:1], 0.5
	v_div_scale_f64 v[2:3], null, v[0:1], v[0:1], v[36:37]
	v_div_scale_f64 v[44:45], null, v[0:1], v[0:1], v[38:39]
	v_div_scale_f64 v[59:60], vcc_lo, v[36:37], v[0:1], v[36:37]
	v_rcp_f64_e32 v[46:47], v[2:3]
	v_rcp_f64_e32 v[48:49], v[44:45]
	v_fma_f64 v[50:51], -v[2:3], v[46:47], 1.0
	v_fma_f64 v[52:53], -v[44:45], v[48:49], 1.0
	v_fma_f64 v[46:47], v[46:47], v[50:51], v[46:47]
	v_fma_f64 v[48:49], v[48:49], v[52:53], v[48:49]
	v_fma_f64 v[50:51], -v[2:3], v[46:47], 1.0
	v_fma_f64 v[52:53], -v[44:45], v[48:49], 1.0
	v_fma_f64 v[46:47], v[46:47], v[50:51], v[46:47]
	v_div_scale_f64 v[50:51], s2, v[38:39], v[0:1], v[38:39]
	v_fma_f64 v[48:49], v[48:49], v[52:53], v[48:49]
	v_mul_f64 v[52:53], v[59:60], v[46:47]
	v_mul_f64 v[61:62], v[50:51], v[48:49]
	v_fma_f64 v[2:3], -v[2:3], v[52:53], v[59:60]
	v_fma_f64 v[44:45], -v[44:45], v[61:62], v[50:51]
	v_div_fmas_f64 v[2:3], v[2:3], v[46:47], v[52:53]
	s_mov_b32 vcc_lo, s2
	v_div_fmas_f64 v[44:45], v[44:45], v[48:49], v[61:62]
	v_div_fixup_f64 v[2:3], v[2:3], v[0:1], v[36:37]
	v_div_fixup_f64 v[44:45], v[44:45], v[0:1], v[38:39]
	v_mul_f64 v[36:37], v[38:39], v[44:45]
	v_fma_f64 v[2:3], v[42:43], v[2:3], -v[36:37]
.LBB12_125:                             ;   in Loop: Header=BB12_68 Depth=2
	s_or_b32 exec_lo, exec_lo, s59
                                        ; implicit-def: $vgpr44_vgpr45
                                        ; implicit-def: $vgpr36_vgpr37
                                        ; implicit-def: $vgpr38_vgpr39
                                        ; implicit-def: $vgpr42_vgpr43
.LBB12_126:                             ;   in Loop: Header=BB12_68 Depth=2
	s_or_saveexec_b32 s58, s58
	v_mov_b32_e32 v7, 1
	s_xor_b32 exec_lo, exec_lo, s58
	s_cbranch_execz .LBB12_128
; %bb.127:                              ;   in Loop: Header=BB12_68 Depth=2
	v_add_f64 v[0:1], v[44:45], -v[40:41]
	v_mov_b32_e32 v7, -1
	v_mul_f64 v[0:1], v[0:1], 0.5
	v_div_scale_f64 v[2:3], null, v[0:1], v[0:1], v[36:37]
	v_div_scale_f64 v[44:45], null, v[0:1], v[0:1], v[38:39]
	v_div_scale_f64 v[59:60], vcc_lo, v[36:37], v[0:1], v[36:37]
	v_rcp_f64_e32 v[46:47], v[2:3]
	v_rcp_f64_e32 v[48:49], v[44:45]
	v_fma_f64 v[50:51], -v[2:3], v[46:47], 1.0
	v_fma_f64 v[52:53], -v[44:45], v[48:49], 1.0
	v_fma_f64 v[46:47], v[46:47], v[50:51], v[46:47]
	v_fma_f64 v[48:49], v[48:49], v[52:53], v[48:49]
	v_fma_f64 v[50:51], -v[2:3], v[46:47], 1.0
	v_fma_f64 v[52:53], -v[44:45], v[48:49], 1.0
	v_fma_f64 v[46:47], v[46:47], v[50:51], v[46:47]
	v_div_scale_f64 v[50:51], s2, v[38:39], v[0:1], v[38:39]
	v_fma_f64 v[48:49], v[48:49], v[52:53], v[48:49]
	v_mul_f64 v[52:53], v[59:60], v[46:47]
	v_mul_f64 v[61:62], v[50:51], v[48:49]
	v_fma_f64 v[2:3], -v[2:3], v[52:53], v[59:60]
	v_fma_f64 v[44:45], -v[44:45], v[61:62], v[50:51]
	v_div_fmas_f64 v[2:3], v[2:3], v[46:47], v[52:53]
	s_mov_b32 vcc_lo, s2
	v_div_fmas_f64 v[44:45], v[44:45], v[48:49], v[61:62]
	v_div_fixup_f64 v[2:3], v[2:3], v[0:1], v[36:37]
	v_div_fixup_f64 v[44:45], v[44:45], v[0:1], v[38:39]
	v_mul_f64 v[36:37], v[38:39], v[44:45]
	v_fma_f64 v[2:3], v[42:43], v[2:3], -v[36:37]
.LBB12_128:                             ;   in Loop: Header=BB12_68 Depth=2
	s_or_b32 exec_lo, exec_lo, s58
	s_mov_b32 s2, exec_lo
                                        ; implicit-def: $vgpr36_vgpr37
	v_cmpx_le_f64_e32 0, v[34:35]
	s_xor_b32 s2, exec_lo, s2
; %bb.129:                              ;   in Loop: Header=BB12_68 Depth=2
	v_add_f64 v[36:37], v[34:35], v[40:41]
                                        ; implicit-def: $vgpr34_vgpr35
                                        ; implicit-def: $vgpr40_vgpr41
; %bb.130:                              ;   in Loop: Header=BB12_68 Depth=2
	s_or_saveexec_b32 s2, s2
	v_mov_b32_e32 v27, 1
	s_xor_b32 exec_lo, exec_lo, s2
; %bb.131:                              ;   in Loop: Header=BB12_68 Depth=2
	v_add_f64 v[36:37], v[34:35], -v[40:41]
	v_mov_b32_e32 v27, -1
; %bb.132:                              ;   in Loop: Header=BB12_68 Depth=2
	s_or_b32 exec_lo, exec_lo, s2
	v_cmp_ngt_f64_e64 s2, |v[36:37]|, |v[32:33]|
                                        ; implicit-def: $vgpr34_vgpr35
                                        ; implicit-def: $vgpr38_vgpr39
	s_and_saveexec_b32 s58, s2
	s_xor_b32 s2, exec_lo, s58
	s_cbranch_execz .LBB12_136
; %bb.133:                              ;   in Loop: Header=BB12_68 Depth=2
	v_mov_b32_e32 v34, 0
	v_mov_b32_e32 v38, 0
	;; [unrolled: 1-line block ×4, first 2 shown]
	s_mov_b32 s58, exec_lo
	v_cmpx_neq_f64_e32 0, v[32:33]
	s_cbranch_execz .LBB12_135
; %bb.134:                              ;   in Loop: Header=BB12_68 Depth=2
	v_div_scale_f64 v[34:35], null, v[32:33], v[32:33], -v[36:37]
	v_div_scale_f64 v[42:43], vcc_lo, -v[36:37], v[32:33], -v[36:37]
	v_rcp_f64_e32 v[38:39], v[34:35]
	v_fma_f64 v[40:41], -v[34:35], v[38:39], 1.0
	v_fma_f64 v[38:39], v[38:39], v[40:41], v[38:39]
	v_fma_f64 v[40:41], -v[34:35], v[38:39], 1.0
	v_fma_f64 v[38:39], v[38:39], v[40:41], v[38:39]
	v_mul_f64 v[40:41], v[42:43], v[38:39]
	v_fma_f64 v[34:35], -v[34:35], v[40:41], v[42:43]
	v_div_fmas_f64 v[34:35], v[34:35], v[38:39], v[40:41]
	v_div_fixup_f64 v[32:33], v[34:35], v[32:33], -v[36:37]
	v_fma_f64 v[34:35], v[32:33], v[32:33], 1.0
	v_cmp_gt_f64_e32 vcc_lo, 0x10000000, v[34:35]
	v_cndmask_b32_e64 v36, 0, 0x100, vcc_lo
	v_ldexp_f64 v[34:35], v[34:35], v36
	v_rsq_f64_e32 v[36:37], v[34:35]
	v_mul_f64 v[38:39], v[34:35], v[36:37]
	v_mul_f64 v[36:37], v[36:37], 0.5
	v_fma_f64 v[40:41], -v[36:37], v[38:39], 0.5
	v_fma_f64 v[38:39], v[38:39], v[40:41], v[38:39]
	v_fma_f64 v[36:37], v[36:37], v[40:41], v[36:37]
	v_fma_f64 v[40:41], -v[38:39], v[38:39], v[34:35]
	v_fma_f64 v[38:39], v[40:41], v[36:37], v[38:39]
	v_fma_f64 v[40:41], -v[38:39], v[38:39], v[34:35]
	v_fma_f64 v[36:37], v[40:41], v[36:37], v[38:39]
	v_cndmask_b32_e64 v38, 0, 0xffffff80, vcc_lo
	v_cmp_class_f64_e64 vcc_lo, v[34:35], 0x260
	v_ldexp_f64 v[36:37], v[36:37], v38
	v_cndmask_b32_e32 v35, v37, v35, vcc_lo
	v_cndmask_b32_e32 v34, v36, v34, vcc_lo
	v_div_scale_f64 v[36:37], null, v[34:35], v[34:35], 1.0
	v_rcp_f64_e32 v[38:39], v[36:37]
	v_fma_f64 v[40:41], -v[36:37], v[38:39], 1.0
	v_fma_f64 v[38:39], v[38:39], v[40:41], v[38:39]
	v_fma_f64 v[40:41], -v[36:37], v[38:39], 1.0
	v_fma_f64 v[38:39], v[38:39], v[40:41], v[38:39]
	v_div_scale_f64 v[40:41], vcc_lo, 1.0, v[34:35], 1.0
	v_mul_f64 v[42:43], v[40:41], v[38:39]
	v_fma_f64 v[36:37], -v[36:37], v[42:43], v[40:41]
	v_div_fmas_f64 v[36:37], v[36:37], v[38:39], v[42:43]
	v_div_fixup_f64 v[38:39], v[36:37], v[34:35], 1.0
	v_mul_f64 v[34:35], v[32:33], v[38:39]
.LBB12_135:                             ;   in Loop: Header=BB12_68 Depth=2
	s_or_b32 exec_lo, exec_lo, s58
                                        ; implicit-def: $vgpr36_vgpr37
                                        ; implicit-def: $vgpr32_vgpr33
.LBB12_136:                             ;   in Loop: Header=BB12_68 Depth=2
	s_andn2_saveexec_b32 s2, s2
	s_cbranch_execz .LBB12_138
; %bb.137:                              ;   in Loop: Header=BB12_68 Depth=2
	v_div_scale_f64 v[34:35], null, v[36:37], v[36:37], -v[32:33]
	v_div_scale_f64 v[42:43], vcc_lo, -v[32:33], v[36:37], -v[32:33]
	v_rcp_f64_e32 v[38:39], v[34:35]
	v_fma_f64 v[40:41], -v[34:35], v[38:39], 1.0
	v_fma_f64 v[38:39], v[38:39], v[40:41], v[38:39]
	v_fma_f64 v[40:41], -v[34:35], v[38:39], 1.0
	v_fma_f64 v[38:39], v[38:39], v[40:41], v[38:39]
	v_mul_f64 v[40:41], v[42:43], v[38:39]
	v_fma_f64 v[34:35], -v[34:35], v[40:41], v[42:43]
	v_div_fmas_f64 v[34:35], v[34:35], v[38:39], v[40:41]
	v_div_fixup_f64 v[32:33], v[34:35], v[36:37], -v[32:33]
	v_fma_f64 v[34:35], v[32:33], v[32:33], 1.0
	v_cmp_gt_f64_e32 vcc_lo, 0x10000000, v[34:35]
	v_cndmask_b32_e64 v36, 0, 0x100, vcc_lo
	v_ldexp_f64 v[34:35], v[34:35], v36
	v_rsq_f64_e32 v[36:37], v[34:35]
	v_mul_f64 v[38:39], v[34:35], v[36:37]
	v_mul_f64 v[36:37], v[36:37], 0.5
	v_fma_f64 v[40:41], -v[36:37], v[38:39], 0.5
	v_fma_f64 v[38:39], v[38:39], v[40:41], v[38:39]
	v_fma_f64 v[36:37], v[36:37], v[40:41], v[36:37]
	v_fma_f64 v[40:41], -v[38:39], v[38:39], v[34:35]
	v_fma_f64 v[38:39], v[40:41], v[36:37], v[38:39]
	v_fma_f64 v[40:41], -v[38:39], v[38:39], v[34:35]
	v_fma_f64 v[36:37], v[40:41], v[36:37], v[38:39]
	v_cndmask_b32_e64 v38, 0, 0xffffff80, vcc_lo
	v_cmp_class_f64_e64 vcc_lo, v[34:35], 0x260
	v_ldexp_f64 v[36:37], v[36:37], v38
	v_cndmask_b32_e32 v35, v37, v35, vcc_lo
	v_cndmask_b32_e32 v34, v36, v34, vcc_lo
	v_div_scale_f64 v[36:37], null, v[34:35], v[34:35], 1.0
	v_rcp_f64_e32 v[38:39], v[36:37]
	v_fma_f64 v[40:41], -v[36:37], v[38:39], 1.0
	v_fma_f64 v[38:39], v[38:39], v[40:41], v[38:39]
	v_fma_f64 v[40:41], -v[36:37], v[38:39], 1.0
	v_fma_f64 v[38:39], v[38:39], v[40:41], v[38:39]
	v_div_scale_f64 v[40:41], vcc_lo, 1.0, v[34:35], 1.0
	v_mul_f64 v[42:43], v[40:41], v[38:39]
	v_fma_f64 v[36:37], -v[36:37], v[42:43], v[40:41]
	v_div_fmas_f64 v[36:37], v[36:37], v[38:39], v[42:43]
	v_div_fixup_f64 v[34:35], v[36:37], v[34:35], 1.0
	v_mul_f64 v[38:39], v[32:33], v[34:35]
.LBB12_138:                             ;   in Loop: Header=BB12_68 Depth=2
	s_or_b32 exec_lo, exec_lo, s2
	v_xor_b32_e32 v32, 0x80000000, v35
	v_cmp_eq_u32_e32 vcc_lo, v7, v27
	v_add_co_u32 v30, s2, s71, v30
	v_add_co_ci_u32_e64 v31, null, s72, v31, s2
	v_cndmask_b32_e32 v33, v39, v32, vcc_lo
	v_cndmask_b32_e32 v32, v38, v34, vcc_lo
	;; [unrolled: 1-line block ×4, first 2 shown]
	v_add_co_u32 v36, vcc_lo, v30, s42
	v_add_nc_u32_e32 v24, -2, v24
	v_add_co_ci_u32_e64 v37, null, s43, v31, vcc_lo
	v_add_co_u32 v27, vcc_lo, s10, v28
	v_add_co_ci_u32_e64 v28, null, s68, v29, vcc_lo
	v_mov_b32_e32 v7, v6
	global_store_dwordx2 v[30:31], v[32:33], off
	global_store_dwordx2 v[36:37], v[34:35], off offset:-8
	global_store_dwordx4 v[25:26], v[0:3], off offset:-8
	global_store_dwordx2 v[27:28], v[6:7], off offset:-8
	ds_write_b32 v6, v24 offset:16
	s_or_b32 exec_lo, exec_lo, s54
                                        ; implicit-def: $vgpr1
.LBB12_139:                             ;   in Loop: Header=BB12_68 Depth=2
	s_andn2_saveexec_b32 s2, s37
.LBB12_140:                             ;   in Loop: Header=BB12_68 Depth=2
	ds_write_b32 v6, v1 offset:16
.LBB12_141:                             ;   in Loop: Header=BB12_68 Depth=2
	s_or_b32 exec_lo, exec_lo, s2
.LBB12_142:                             ;   in Loop: Header=BB12_68 Depth=2
	s_or_b32 exec_lo, exec_lo, s3
	s_waitcnt lgkmcnt(0)
	s_waitcnt_vscnt null, 0x0
	s_barrier
	buffer_gl0_inv
	ds_read_b64 v[0:1], v6 offset:16
	s_waitcnt lgkmcnt(0)
	v_readfirstlane_b32 s2, v1
	v_cmp_eq_u32_e32 vcc_lo, s2, v0
	v_mov_b32_e32 v24, s2
	s_cbranch_vccnz .LBB12_67
; %bb.143:                              ;   in Loop: Header=BB12_68 Depth=2
	s_and_saveexec_b32 s37, s1
	s_cbranch_execz .LBB12_66
; %bb.144:                              ;   in Loop: Header=BB12_68 Depth=2
	ds_read_b32 v0, v6 offset:28
	s_ashr_i32 s3, s2, 31
	s_mul_i32 s60, s2, s11
	s_lshl_b64 s[58:59], s[2:3], 3
	v_mov_b32_e32 v2, v4
	s_waitcnt lgkmcnt(0)
	v_readfirstlane_b32 s54, v0
	s_sub_i32 s54, s54, s2
	s_add_u32 s58, s71, s58
	s_addc_u32 s59, s72, s59
	s_ashr_i32 s61, s60, 31
	s_mul_hi_i32 s3, s54, s40
	s_lshl_b64 s[62:63], s[60:61], 3
	s_mul_i32 s2, s54, s40
	s_add_u32 s60, s69, s62
	s_addc_u32 s61, s70, s63
	s_cmp_gt_i32 s54, 0
	v_add_co_u32 v0, vcc_lo, v5, s62
	v_add_co_ci_u32_e64 v1, null, s63, v55, vcc_lo
	s_cselect_b32 s62, -1, 0
	s_lshl_b64 s[2:3], s[2:3], 3
	s_mov_b32 s63, 0
	s_add_u32 s64, s60, s2
	s_addc_u32 s65, s61, s3
	s_branch .LBB12_146
.LBB12_145:                             ;   in Loop: Header=BB12_146 Depth=3
	v_add_nc_u32_e32 v2, s30, v2
	v_add_co_u32 v26, vcc_lo, s64, v26
	v_add_co_ci_u32_e64 v27, null, s65, v27, vcc_lo
	v_cmp_le_i32_e32 vcc_lo, s6, v2
	v_add_co_u32 v0, s2, v0, s44
	v_add_co_ci_u32_e64 v1, null, s45, v1, s2
	s_or_b32 s63, vcc_lo, s63
	s_waitcnt vmcnt(0)
	global_store_dwordx2 v[26:27], v[24:25], off
	s_andn2_b32 exec_lo, exec_lo, s63
	s_cbranch_execz .LBB12_66
.LBB12_146:                             ;   Parent Loop BB12_7 Depth=1
                                        ;     Parent Loop BB12_68 Depth=2
                                        ; =>    This Loop Header: Depth=3
                                        ;         Child Loop BB12_147 Depth 4
	v_ashrrev_i32_e32 v3, 31, v2
	v_mov_b32_e32 v29, v1
	v_mov_b32_e32 v28, v0
	s_mov_b64 s[2:3], s[58:59]
	s_mov_b32 s66, s54
	v_lshlrev_b64 v[26:27], 3, v[2:3]
	v_add_co_u32 v24, vcc_lo, s60, v26
	v_add_co_ci_u32_e64 v25, null, s61, v27, vcc_lo
	s_andn2_b32 vcc_lo, exec_lo, s62
	global_load_dwordx2 v[24:25], v[24:25], off
	s_cbranch_vccnz .LBB12_145
	.p2align	6
.LBB12_147:                             ;   Parent Loop BB12_7 Depth=1
                                        ;     Parent Loop BB12_68 Depth=2
                                        ;       Parent Loop BB12_146 Depth=3
                                        ; =>      This Inner Loop Header: Depth=4
	v_add_co_u32 v30, vcc_lo, v28, s52
	v_add_co_ci_u32_e64 v31, null, s53, v29, vcc_lo
	s_add_u32 s82, s2, s7
	s_addc_u32 s83, s3, s31
	s_add_i32 s66, s66, -1
	global_load_dwordx2 v[32:33], v[30:31], off
	s_clause 0x1
	global_load_dwordx2 v[34:35], v6, s[82:83]
	global_load_dwordx2 v[36:37], v6, s[2:3]
	s_add_u32 s2, s2, 8
	s_addc_u32 s3, s3, 0
	s_cmp_eq_u32 s66, 0
	s_waitcnt vmcnt(1)
	v_mul_f64 v[38:39], v[34:35], v[32:33]
	v_mul_f64 v[34:35], v[24:25], v[34:35]
	s_waitcnt vmcnt(0)
	v_fma_f64 v[38:39], v[24:25], v[36:37], v[38:39]
	v_fma_f64 v[24:25], v[36:37], v[32:33], -v[34:35]
	global_store_dwordx2 v[28:29], v[38:39], off
	v_mov_b32_e32 v28, v30
	v_mov_b32_e32 v29, v31
	s_cbranch_scc0 .LBB12_147
	s_branch .LBB12_145
.LBB12_148:                             ;   in Loop: Header=BB12_68 Depth=2
	s_or_b32 exec_lo, exec_lo, s54
                                        ; implicit-def: $vgpr1
	s_andn2_saveexec_b32 s2, s37
	s_cbranch_execnz .LBB12_140
	s_branch .LBB12_141
.LBB12_149:                             ;   in Loop: Header=BB12_151 Depth=2
	s_or_b32 exec_lo, exec_lo, s37
	s_waitcnt_vscnt null, 0x0
	s_barrier
	buffer_gl0_inv
	ds_read_b32 v32, v6 offset:16
.LBB12_150:                             ;   in Loop: Header=BB12_151 Depth=2
	ds_read_b64 v[36:37], v6 offset:32
	s_waitcnt lgkmcnt(0)
	v_cmp_le_i32_e32 vcc_lo, v32, v36
	v_cmp_gt_i32_e64 s3, s33, v37
	s_and_b32 s3, vcc_lo, s3
	s_andn2_b32 vcc_lo, exec_lo, s3
	s_cbranch_vccnz .LBB12_50
.LBB12_151:                             ;   Parent Loop BB12_7 Depth=1
                                        ; =>  This Loop Header: Depth=2
                                        ;       Child Loop BB12_157 Depth 3
                                        ;       Child Loop BB12_177 Depth 3
	;; [unrolled: 1-line block ×3, first 2 shown]
                                        ;         Child Loop BB12_229 Depth 4
	s_and_saveexec_b32 s37, s0
	s_cbranch_execz .LBB12_224
; %bb.152:                              ;   in Loop: Header=BB12_151 Depth=2
	v_cmp_lt_i32_e32 vcc_lo, v32, v36
	s_mov_b32 s3, 0
	s_cbranch_vccnz .LBB12_154
; %bb.153:                              ;   in Loop: Header=BB12_151 Depth=2
	v_ashrrev_i32_e32 v33, 31, v32
	v_mov_b32_e32 v1, v32
	s_mov_b32 s54, -1
	v_mov_b32_e32 v2, v33
	v_mov_b32_e32 v0, v32
	s_cbranch_execz .LBB12_155
	s_branch .LBB12_160
.LBB12_154:                             ;   in Loop: Header=BB12_151 Depth=2
	s_mov_b32 s54, 0
                                        ; implicit-def: $vgpr1_vgpr2
	v_mov_b32_e32 v0, v32
.LBB12_155:                             ;   in Loop: Header=BB12_151 Depth=2
	v_ashrrev_i32_e32 v33, 31, v32
	v_mov_b32_e32 v7, v32
	v_lshlrev_b64 v[0:1], 3, v[32:33]
	v_add_co_u32 v2, vcc_lo, s10, v0
	v_add_co_ci_u32_e64 v3, null, s68, v1, vcc_lo
	v_add_co_u32 v0, vcc_lo, s73, v0
	v_add_co_ci_u32_e64 v1, null, s74, v1, vcc_lo
	s_branch .LBB12_157
	.p2align	6
.LBB12_156:                             ;   in Loop: Header=BB12_157 Depth=3
	v_add_nc_u32_e32 v7, 1, v25
	v_add_co_u32 v2, vcc_lo, v28, 8
	v_add_co_ci_u32_e64 v3, null, 0, v29, vcc_lo
	v_add_co_u32 v0, vcc_lo, v0, 8
	v_add_co_ci_u32_e64 v1, null, 0, v1, vcc_lo
	v_cmp_ge_i32_e64 s54, v7, v36
	s_mov_b32 s3, 0
	s_andn2_b32 vcc_lo, exec_lo, s54
	s_cbranch_vccz .LBB12_159
.LBB12_157:                             ;   Parent Loop BB12_7 Depth=1
                                        ;     Parent Loop BB12_151 Depth=2
                                        ; =>    This Inner Loop Header: Depth=3
	global_load_dwordx4 v[38:41], v[0:1], off
	v_mov_b32_e32 v29, v3
	v_mov_b32_e32 v28, v2
	global_load_dwordx2 v[2:3], v[2:3], off
	v_mov_b32_e32 v25, v7
	s_waitcnt vmcnt(1)
	v_mul_f64 v[30:31], v[38:39], v[40:41]
	s_waitcnt vmcnt(0)
	v_mul_f64 v[2:3], v[2:3], v[2:3]
	v_mul_f64 v[30:31], v[8:9], |v[30:31]|
	v_cmp_le_f64_e64 s3, |v[2:3]|, v[30:31]
	s_and_b32 vcc_lo, exec_lo, s3
	s_cbranch_vccz .LBB12_156
; %bb.158:                              ;   in Loop: Header=BB12_151 Depth=2
	s_mov_b32 s3, -1
                                        ; implicit-def: $vgpr7
                                        ; implicit-def: $vgpr2_vgpr3
                                        ; implicit-def: $vgpr0_vgpr1
.LBB12_159:                             ;   in Loop: Header=BB12_151 Depth=2
	v_mov_b32_e32 v30, v32
	v_mov_b32_e32 v1, v32
	;; [unrolled: 1-line block ×5, first 2 shown]
	s_xor_b32 s54, s3, -1
	s_mov_b32 s3, -1
.LBB12_160:                             ;   in Loop: Header=BB12_151 Depth=2
	s_and_b32 vcc_lo, exec_lo, s54
	s_cbranch_vccnz .LBB12_189
; %bb.161:                              ;   in Loop: Header=BB12_151 Depth=2
	s_andn2_b32 vcc_lo, exec_lo, s3
	s_cbranch_vccnz .LBB12_163
.LBB12_162:                             ;   in Loop: Header=BB12_151 Depth=2
	v_mov_b32_e32 v1, v30
	v_mov_b32_e32 v7, v6
	;; [unrolled: 1-line block ×4, first 2 shown]
	ds_write2_b32 v6, v25, v32 offset0:5 offset1:7
	global_store_dwordx2 v[28:29], v[6:7], off
.LBB12_163:                             ;   in Loop: Header=BB12_151 Depth=2
	v_lshlrev_b64 v[35:36], 3, v[1:2]
	v_add_nc_u32_e32 v1, 1, v32
	s_mov_b32 s3, exec_lo
	v_add_co_u32 v33, vcc_lo, s18, v35
	v_add_co_ci_u32_e64 v34, null, s19, v36, vcc_lo
	global_load_dwordx2 v[45:46], v[33:34], off
	s_waitcnt vmcnt(0)
	ds_write_b64 v6, v[45:46]
	v_cmpx_ne_u32_e64 v0, v32
	s_xor_b32 s54, exec_lo, s3
	s_cbranch_execz .LBB12_221
; %bb.164:                              ;   in Loop: Header=BB12_151 Depth=2
	s_mov_b32 s3, exec_lo
	v_cmpx_ne_u32_e64 v0, v1
	s_xor_b32 s66, exec_lo, s3
	s_cbranch_execz .LBB12_193
; %bb.165:                              ;   in Loop: Header=BB12_151 Depth=2
	v_add_co_u32 v2, vcc_lo, s10, v35
	v_add_co_ci_u32_e64 v3, null, s68, v36, vcc_lo
	global_load_dwordx2 v[35:36], v[33:34], off offset:8
	global_load_dwordx2 v[38:39], v[2:3], off
	s_waitcnt vmcnt(1)
	v_add_f64 v[35:36], v[35:36], -v[45:46]
	s_waitcnt vmcnt(0)
	v_add_f64 v[40:41], v[38:39], v[38:39]
	v_div_scale_f64 v[42:43], null, v[40:41], v[40:41], v[35:36]
	v_div_scale_f64 v[51:52], vcc_lo, v[35:36], v[40:41], v[35:36]
	v_rcp_f64_e32 v[47:48], v[42:43]
	v_fma_f64 v[49:50], -v[42:43], v[47:48], 1.0
	v_fma_f64 v[47:48], v[47:48], v[49:50], v[47:48]
	v_fma_f64 v[49:50], -v[42:43], v[47:48], 1.0
	v_fma_f64 v[47:48], v[47:48], v[49:50], v[47:48]
	v_mul_f64 v[49:50], v[51:52], v[47:48]
	v_fma_f64 v[42:43], -v[42:43], v[49:50], v[51:52]
	v_div_fmas_f64 v[42:43], v[42:43], v[47:48], v[49:50]
	v_div_fixup_f64 v[35:36], v[42:43], v[40:41], v[35:36]
	v_fma_f64 v[40:41], v[35:36], v[35:36], 1.0
	v_cmp_gt_f64_e32 vcc_lo, 0x10000000, v[40:41]
	v_cndmask_b32_e64 v1, 0, 0x100, vcc_lo
	v_ldexp_f64 v[49:50], v[40:41], v1
	v_ashrrev_i32_e32 v1, 31, v0
	v_rsq_f64_e32 v[40:41], v[49:50]
	v_mul_f64 v[42:43], v[49:50], v[40:41]
	v_mul_f64 v[40:41], v[40:41], 0.5
	v_fma_f64 v[47:48], -v[40:41], v[42:43], 0.5
	v_fma_f64 v[51:52], v[42:43], v[47:48], v[42:43]
	v_fma_f64 v[53:54], v[40:41], v[47:48], v[40:41]
	v_lshlrev_b64 v[43:44], 3, v[0:1]
	v_cndmask_b32_e64 v1, 0, 0xffffff80, vcc_lo
	v_cmp_class_f64_e64 vcc_lo, v[49:50], 0x260
	v_fma_f64 v[40:41], -v[51:52], v[51:52], v[49:50]
	v_fma_f64 v[51:52], v[40:41], v[53:54], v[51:52]
	v_add_co_u32 v41, s3, s18, v43
	v_add_co_ci_u32_e64 v42, null, s19, v44, s3
	s_mov_b32 s3, exec_lo
	global_load_dwordx2 v[47:48], v[41:42], off
	v_fma_f64 v[59:60], -v[51:52], v[51:52], v[49:50]
	v_fma_f64 v[51:52], v[59:60], v[53:54], v[51:52]
	v_ldexp_f64 v[51:52], v[51:52], v1
	v_cndmask_b32_e32 v1, v52, v50, vcc_lo
	v_cndmask_b32_e32 v49, v51, v49, vcc_lo
	v_cmp_nle_f64_e32 vcc_lo, 0, v[35:36]
	v_and_b32_e32 v7, 0x7fffffff, v1
	v_or_b32_e32 v1, 0x80000000, v1
	v_cndmask_b32_e32 v50, v7, v1, vcc_lo
	v_add_nc_u32_e32 v1, 1, v37
	v_mov_b32_e32 v7, v6
	ds_write_b32 v6, v1 offset:36
	ds_write_b64 v6, v[6:7]
	v_add_f64 v[35:36], v[35:36], v[49:50]
	v_div_scale_f64 v[49:50], null, v[35:36], v[35:36], v[38:39]
	v_rcp_f64_e32 v[51:52], v[49:50]
	v_fma_f64 v[53:54], -v[49:50], v[51:52], 1.0
	v_fma_f64 v[51:52], v[51:52], v[53:54], v[51:52]
	v_fma_f64 v[53:54], -v[49:50], v[51:52], 1.0
	v_fma_f64 v[51:52], v[51:52], v[53:54], v[51:52]
	v_div_scale_f64 v[53:54], vcc_lo, v[38:39], v[35:36], v[38:39]
	v_mul_f64 v[59:60], v[53:54], v[51:52]
	v_fma_f64 v[49:50], -v[49:50], v[59:60], v[53:54]
	v_div_fmas_f64 v[49:50], v[49:50], v[51:52], v[59:60]
	s_waitcnt vmcnt(0)
	v_add_f64 v[51:52], v[47:48], -v[45:46]
	v_div_fixup_f64 v[35:36], v[49:50], v[35:36], v[38:39]
	v_mov_b32_e32 v37, 0
	v_mov_b32_e32 v38, 0
	v_add_f64 v[35:36], v[51:52], v[35:36]
	v_cmpx_gt_i32_e64 v0, v32
	s_cbranch_execz .LBB12_192
; %bb.166:                              ;   in Loop: Header=BB12_151 Depth=2
	v_add_co_u32 v37, vcc_lo, s10, v43
	v_add_co_ci_u32_e64 v38, null, s68, v44, vcc_lo
	v_mov_b32_e32 v49, 0
	v_mov_b32_e32 v39, 0
	;; [unrolled: 1-line block ×3, first 2 shown]
	global_load_dwordx2 v[45:46], v[37:38], off offset:-8
	v_mov_b32_e32 v40, 0x3ff00000
	s_mov_b32 s58, exec_lo
	s_waitcnt vmcnt(0)
	v_cmpx_neq_f64_e32 0, v[45:46]
	s_cbranch_execz .LBB12_174
; %bb.167:                              ;   in Loop: Header=BB12_151 Depth=2
	v_mov_b32_e32 v39, 0
	v_mov_b32_e32 v49, 0
	;; [unrolled: 1-line block ×4, first 2 shown]
	s_mov_b32 s59, exec_lo
	v_cmpx_neq_f64_e32 0, v[35:36]
	s_cbranch_execz .LBB12_173
; %bb.168:                              ;   in Loop: Header=BB12_151 Depth=2
	v_cmp_ngt_f64_e64 s60, |v[45:46]|, |v[35:36]|
                                        ; implicit-def: $vgpr49_vgpr50
                                        ; implicit-def: $vgpr39_vgpr40
	s_and_saveexec_b32 s61, s60
	s_xor_b32 s60, exec_lo, s61
	s_cbranch_execz .LBB12_170
; %bb.169:                              ;   in Loop: Header=BB12_151 Depth=2
	v_div_scale_f64 v[37:38], null, v[35:36], v[35:36], -v[45:46]
	v_div_scale_f64 v[51:52], vcc_lo, -v[45:46], v[35:36], -v[45:46]
	v_rcp_f64_e32 v[39:40], v[37:38]
	v_fma_f64 v[49:50], -v[37:38], v[39:40], 1.0
	v_fma_f64 v[39:40], v[39:40], v[49:50], v[39:40]
	v_fma_f64 v[49:50], -v[37:38], v[39:40], 1.0
	v_fma_f64 v[39:40], v[39:40], v[49:50], v[39:40]
	v_mul_f64 v[49:50], v[51:52], v[39:40]
	v_fma_f64 v[37:38], -v[37:38], v[49:50], v[51:52]
	v_div_fmas_f64 v[37:38], v[37:38], v[39:40], v[49:50]
	v_div_fixup_f64 v[35:36], v[37:38], v[35:36], -v[45:46]
	v_fma_f64 v[37:38], v[35:36], v[35:36], 1.0
	v_cmp_gt_f64_e32 vcc_lo, 0x10000000, v[37:38]
	v_cndmask_b32_e64 v1, 0, 0x100, vcc_lo
	v_ldexp_f64 v[37:38], v[37:38], v1
	v_cndmask_b32_e64 v1, 0, 0xffffff80, vcc_lo
	v_rsq_f64_e32 v[39:40], v[37:38]
	v_cmp_class_f64_e64 vcc_lo, v[37:38], 0x260
	v_mul_f64 v[49:50], v[37:38], v[39:40]
	v_mul_f64 v[39:40], v[39:40], 0.5
	v_fma_f64 v[51:52], -v[39:40], v[49:50], 0.5
	v_fma_f64 v[49:50], v[49:50], v[51:52], v[49:50]
	v_fma_f64 v[39:40], v[39:40], v[51:52], v[39:40]
	v_fma_f64 v[51:52], -v[49:50], v[49:50], v[37:38]
	v_fma_f64 v[49:50], v[51:52], v[39:40], v[49:50]
	v_fma_f64 v[51:52], -v[49:50], v[49:50], v[37:38]
	v_fma_f64 v[39:40], v[51:52], v[39:40], v[49:50]
	v_ldexp_f64 v[39:40], v[39:40], v1
	v_cndmask_b32_e32 v38, v40, v38, vcc_lo
	v_cndmask_b32_e32 v37, v39, v37, vcc_lo
	v_div_scale_f64 v[39:40], null, v[37:38], v[37:38], 1.0
	v_rcp_f64_e32 v[49:50], v[39:40]
	v_fma_f64 v[51:52], -v[39:40], v[49:50], 1.0
	v_fma_f64 v[49:50], v[49:50], v[51:52], v[49:50]
	v_fma_f64 v[51:52], -v[39:40], v[49:50], 1.0
	v_fma_f64 v[49:50], v[49:50], v[51:52], v[49:50]
	v_div_scale_f64 v[51:52], vcc_lo, 1.0, v[37:38], 1.0
	v_mul_f64 v[53:54], v[51:52], v[49:50]
	v_fma_f64 v[39:40], -v[39:40], v[53:54], v[51:52]
	v_div_fmas_f64 v[39:40], v[39:40], v[49:50], v[53:54]
	v_div_fixup_f64 v[39:40], v[39:40], v[37:38], 1.0
	v_mul_f64 v[49:50], v[35:36], v[39:40]
                                        ; implicit-def: $vgpr35_vgpr36
.LBB12_170:                             ;   in Loop: Header=BB12_151 Depth=2
	s_andn2_saveexec_b32 s60, s60
	s_cbranch_execz .LBB12_172
; %bb.171:                              ;   in Loop: Header=BB12_151 Depth=2
	v_div_scale_f64 v[37:38], null, v[45:46], v[45:46], -v[35:36]
	v_div_scale_f64 v[51:52], vcc_lo, -v[35:36], v[45:46], -v[35:36]
	v_rcp_f64_e32 v[39:40], v[37:38]
	v_fma_f64 v[49:50], -v[37:38], v[39:40], 1.0
	v_fma_f64 v[39:40], v[39:40], v[49:50], v[39:40]
	v_fma_f64 v[49:50], -v[37:38], v[39:40], 1.0
	v_fma_f64 v[39:40], v[39:40], v[49:50], v[39:40]
	v_mul_f64 v[49:50], v[51:52], v[39:40]
	v_fma_f64 v[37:38], -v[37:38], v[49:50], v[51:52]
	v_div_fmas_f64 v[37:38], v[37:38], v[39:40], v[49:50]
	v_div_fixup_f64 v[35:36], v[37:38], v[45:46], -v[35:36]
	v_fma_f64 v[37:38], v[35:36], v[35:36], 1.0
	v_cmp_gt_f64_e32 vcc_lo, 0x10000000, v[37:38]
	v_cndmask_b32_e64 v1, 0, 0x100, vcc_lo
	v_ldexp_f64 v[37:38], v[37:38], v1
	v_cndmask_b32_e64 v1, 0, 0xffffff80, vcc_lo
	v_rsq_f64_e32 v[39:40], v[37:38]
	v_cmp_class_f64_e64 vcc_lo, v[37:38], 0x260
	v_mul_f64 v[49:50], v[37:38], v[39:40]
	v_mul_f64 v[39:40], v[39:40], 0.5
	v_fma_f64 v[51:52], -v[39:40], v[49:50], 0.5
	v_fma_f64 v[49:50], v[49:50], v[51:52], v[49:50]
	v_fma_f64 v[39:40], v[39:40], v[51:52], v[39:40]
	v_fma_f64 v[51:52], -v[49:50], v[49:50], v[37:38]
	v_fma_f64 v[49:50], v[51:52], v[39:40], v[49:50]
	v_fma_f64 v[51:52], -v[49:50], v[49:50], v[37:38]
	v_fma_f64 v[39:40], v[51:52], v[39:40], v[49:50]
	v_ldexp_f64 v[39:40], v[39:40], v1
	v_cndmask_b32_e32 v38, v40, v38, vcc_lo
	v_cndmask_b32_e32 v37, v39, v37, vcc_lo
	v_div_scale_f64 v[39:40], null, v[37:38], v[37:38], 1.0
	v_rcp_f64_e32 v[49:50], v[39:40]
	v_fma_f64 v[51:52], -v[39:40], v[49:50], 1.0
	v_fma_f64 v[49:50], v[49:50], v[51:52], v[49:50]
	v_fma_f64 v[51:52], -v[39:40], v[49:50], 1.0
	v_fma_f64 v[49:50], v[49:50], v[51:52], v[49:50]
	v_div_scale_f64 v[51:52], vcc_lo, 1.0, v[37:38], 1.0
	v_mul_f64 v[53:54], v[51:52], v[49:50]
	v_fma_f64 v[39:40], -v[39:40], v[53:54], v[51:52]
	v_div_fmas_f64 v[39:40], v[39:40], v[49:50], v[53:54]
	v_div_fixup_f64 v[49:50], v[39:40], v[37:38], 1.0
	v_mul_f64 v[39:40], v[35:36], v[49:50]
.LBB12_172:                             ;   in Loop: Header=BB12_151 Depth=2
	s_or_b32 exec_lo, exec_lo, s60
.LBB12_173:                             ;   in Loop: Header=BB12_151 Depth=2
	s_or_b32 exec_lo, exec_lo, s59
.LBB12_174:                             ;   in Loop: Header=BB12_151 Depth=2
	s_or_b32 exec_lo, exec_lo, s58
	global_load_dwordx2 v[35:36], v[41:42], off offset:-8
	v_add_f64 v[37:38], v[39:40], v[39:40]
	s_mov_b32 s67, exec_lo
	s_waitcnt vmcnt(0)
	v_add_f64 v[35:36], v[35:36], -v[47:48]
	v_mul_f64 v[35:36], v[49:50], v[35:36]
	v_fma_f64 v[35:36], v[45:46], v[37:38], -v[35:36]
	v_mul_f64 v[37:38], v[35:36], -v[49:50]
	v_fma_f64 v[47:48], v[35:36], -v[49:50], v[47:48]
	v_fma_f64 v[35:36], v[39:40], v[35:36], -v[45:46]
	v_add_co_u32 v45, vcc_lo, s71, v43
	v_add_co_ci_u32_e64 v46, null, s72, v44, vcc_lo
	v_add_nc_u32_e32 v43, -1, v0
	v_add_co_u32 v1, vcc_lo, v45, -8
	v_add_co_ci_u32_e64 v7, null, -1, v46, vcc_lo
	v_add_co_u32 v51, vcc_lo, v1, s42
	v_add_co_ci_u32_e64 v52, null, s43, v7, vcc_lo
	ds_write_b64 v6, v[37:38]
	global_store_dwordx2 v[41:42], v[47:48], off
	global_store_dwordx2 v[45:46], v[39:40], off offset:-8
	global_store_dwordx2 v[51:52], v[49:50], off offset:-8
	v_cmpx_gt_i32_e64 v43, v32
	s_cbranch_execz .LBB12_191
; %bb.175:                              ;   in Loop: Header=BB12_151 Depth=2
	v_ashrrev_i32_e32 v44, 31, v43
	v_xor_b32_e32 v50, 0x80000000, v50
	s_mov_b32 s81, -1
	s_mov_b32 s82, 0
	s_mov_b64 s[58:59], s[50:51]
	v_lshlrev_b64 v[41:42], 3, v[43:44]
	s_mov_b64 s[60:61], s[18:19]
	s_mov_b64 s[62:63], s[48:49]
	;; [unrolled: 1-line block ×3, first 2 shown]
	s_branch .LBB12_177
.LBB12_176:                             ;   in Loop: Header=BB12_177 Depth=3
	v_add_co_u32 v45, vcc_lo, s60, v41
	v_add_co_ci_u32_e64 v46, null, s61, v42, vcc_lo
	v_mul_f64 v[39:40], v[39:40], v[43:44]
	v_add_f64 v[43:44], v[51:52], v[51:52]
	v_add_co_u32 v53, vcc_lo, s62, v41
	global_load_dwordx4 v[59:62], v[45:46], off offset:-8
	v_add_co_ci_u32_e64 v54, null, s63, v42, vcc_lo
	v_xor_b32_e32 v50, 0x80000000, v48
	v_mov_b32_e32 v49, v47
	s_waitcnt vmcnt(0)
	v_add_f64 v[35:36], v[61:62], -v[37:38]
	v_add_f64 v[37:38], v[59:60], -v[35:36]
	v_mul_f64 v[37:38], v[47:48], v[37:38]
	v_fma_f64 v[43:44], v[39:40], v[43:44], -v[37:38]
	v_mul_f64 v[37:38], v[43:44], -v[47:48]
	v_fma_f64 v[59:60], v[43:44], -v[47:48], v[35:36]
	v_fma_f64 v[35:36], v[51:52], v[43:44], -v[39:40]
	v_add_co_u32 v43, vcc_lo, s64, v41
	s_add_u32 s64, s64, -8
	v_add_co_ci_u32_e64 v44, null, s65, v42, vcc_lo
	s_addc_u32 s65, s65, -1
	s_add_u32 s62, s62, -8
	s_addc_u32 s63, s63, -1
	s_add_i32 s81, s81, -1
	v_mov_b32_e32 v39, v51
	v_add_nc_u32_e32 v1, s81, v0
	s_add_u32 s60, s60, -8
	v_mov_b32_e32 v40, v52
	s_addc_u32 s61, s61, -1
	s_add_u32 s58, s58, -8
	v_cmp_le_i32_e32 vcc_lo, v1, v32
	s_addc_u32 s59, s59, -1
	global_store_dwordx2 v[45:46], v[59:60], off
	global_store_dwordx2 v[53:54], v[51:52], off
	;; [unrolled: 1-line block ×3, first 2 shown]
	s_or_b32 s82, vcc_lo, s82
	s_andn2_b32 exec_lo, exec_lo, s82
	s_cbranch_execz .LBB12_190
.LBB12_177:                             ;   Parent Loop BB12_7 Depth=1
                                        ;     Parent Loop BB12_151 Depth=2
                                        ; =>    This Inner Loop Header: Depth=3
	v_add_co_u32 v45, vcc_lo, s58, v41
	v_add_co_ci_u32_e64 v46, null, s59, v42, vcc_lo
	v_mov_b32_e32 v47, 0
	v_mov_b32_e32 v51, 0
	;; [unrolled: 1-line block ×3, first 2 shown]
	global_load_dwordx2 v[43:44], v[45:46], off
	v_mov_b32_e32 v52, 0x3ff00000
	s_mov_b32 s83, exec_lo
	s_waitcnt vmcnt(0)
	v_mul_f64 v[49:50], v[49:50], v[43:44]
	v_cmpx_neq_f64_e32 0, v[49:50]
	s_cbranch_execz .LBB12_187
; %bb.178:                              ;   in Loop: Header=BB12_177 Depth=3
	v_xor_b32_e32 v54, 0x80000000, v50
	v_mov_b32_e32 v53, v49
	s_mov_b32 s84, exec_lo
                                        ; implicit-def: $vgpr47_vgpr48
                                        ; implicit-def: $vgpr51_vgpr52
	v_cmpx_neq_f64_e32 0, v[35:36]
	s_xor_b32 s84, exec_lo, s84
	s_cbranch_execz .LBB12_184
; %bb.179:                              ;   in Loop: Header=BB12_177 Depth=3
	v_cmp_ngt_f64_e64 s85, |v[49:50]|, |v[35:36]|
                                        ; implicit-def: $vgpr47_vgpr48
                                        ; implicit-def: $vgpr51_vgpr52
	s_and_saveexec_b32 s86, s85
	s_xor_b32 s85, exec_lo, s86
	s_cbranch_execz .LBB12_181
; %bb.180:                              ;   in Loop: Header=BB12_177 Depth=3
	v_div_scale_f64 v[47:48], null, v[35:36], v[35:36], -v[49:50]
	v_div_scale_f64 v[59:60], vcc_lo, -v[49:50], v[35:36], -v[49:50]
	v_rcp_f64_e32 v[51:52], v[47:48]
	v_fma_f64 v[53:54], -v[47:48], v[51:52], 1.0
	v_fma_f64 v[51:52], v[51:52], v[53:54], v[51:52]
	v_fma_f64 v[53:54], -v[47:48], v[51:52], 1.0
	v_fma_f64 v[51:52], v[51:52], v[53:54], v[51:52]
	v_mul_f64 v[53:54], v[59:60], v[51:52]
	v_fma_f64 v[47:48], -v[47:48], v[53:54], v[59:60]
	v_div_fmas_f64 v[47:48], v[47:48], v[51:52], v[53:54]
	v_div_fixup_f64 v[47:48], v[47:48], v[35:36], -v[49:50]
	v_fma_f64 v[51:52], v[47:48], v[47:48], 1.0
	v_cmp_gt_f64_e32 vcc_lo, 0x10000000, v[51:52]
	v_cndmask_b32_e64 v1, 0, 0x100, vcc_lo
	v_ldexp_f64 v[51:52], v[51:52], v1
	v_cndmask_b32_e64 v1, 0, 0xffffff80, vcc_lo
	v_rsq_f64_e32 v[53:54], v[51:52]
	v_cmp_class_f64_e64 vcc_lo, v[51:52], 0x260
	v_mul_f64 v[59:60], v[51:52], v[53:54]
	v_mul_f64 v[53:54], v[53:54], 0.5
	v_fma_f64 v[61:62], -v[53:54], v[59:60], 0.5
	v_fma_f64 v[59:60], v[59:60], v[61:62], v[59:60]
	v_fma_f64 v[53:54], v[53:54], v[61:62], v[53:54]
	v_fma_f64 v[61:62], -v[59:60], v[59:60], v[51:52]
	v_fma_f64 v[59:60], v[61:62], v[53:54], v[59:60]
	v_fma_f64 v[61:62], -v[59:60], v[59:60], v[51:52]
	v_fma_f64 v[53:54], v[61:62], v[53:54], v[59:60]
	v_ldexp_f64 v[53:54], v[53:54], v1
	v_cndmask_b32_e32 v52, v54, v52, vcc_lo
	v_cndmask_b32_e32 v51, v53, v51, vcc_lo
	v_div_scale_f64 v[53:54], null, v[51:52], v[51:52], 1.0
	v_rcp_f64_e32 v[59:60], v[53:54]
	v_fma_f64 v[61:62], -v[53:54], v[59:60], 1.0
	v_fma_f64 v[59:60], v[59:60], v[61:62], v[59:60]
	v_fma_f64 v[61:62], -v[53:54], v[59:60], 1.0
	v_fma_f64 v[59:60], v[59:60], v[61:62], v[59:60]
	v_div_scale_f64 v[61:62], vcc_lo, 1.0, v[51:52], 1.0
	v_mul_f64 v[63:64], v[61:62], v[59:60]
	v_fma_f64 v[53:54], -v[53:54], v[63:64], v[61:62]
	v_div_fmas_f64 v[53:54], v[53:54], v[59:60], v[63:64]
	v_div_fixup_f64 v[51:52], v[53:54], v[51:52], 1.0
	v_mul_f64 v[47:48], v[47:48], v[51:52]
.LBB12_181:                             ;   in Loop: Header=BB12_177 Depth=3
	s_andn2_saveexec_b32 s85, s85
	s_cbranch_execz .LBB12_183
; %bb.182:                              ;   in Loop: Header=BB12_177 Depth=3
	v_div_scale_f64 v[47:48], null, v[49:50], v[49:50], -v[35:36]
	v_div_scale_f64 v[59:60], vcc_lo, -v[35:36], v[49:50], -v[35:36]
	v_rcp_f64_e32 v[51:52], v[47:48]
	v_fma_f64 v[53:54], -v[47:48], v[51:52], 1.0
	v_fma_f64 v[51:52], v[51:52], v[53:54], v[51:52]
	v_fma_f64 v[53:54], -v[47:48], v[51:52], 1.0
	v_fma_f64 v[51:52], v[51:52], v[53:54], v[51:52]
	v_mul_f64 v[53:54], v[59:60], v[51:52]
	v_fma_f64 v[47:48], -v[47:48], v[53:54], v[59:60]
	v_div_fmas_f64 v[47:48], v[47:48], v[51:52], v[53:54]
	v_div_fixup_f64 v[51:52], v[47:48], v[49:50], -v[35:36]
	v_fma_f64 v[47:48], v[51:52], v[51:52], 1.0
	v_cmp_gt_f64_e32 vcc_lo, 0x10000000, v[47:48]
	v_cndmask_b32_e64 v1, 0, 0x100, vcc_lo
	v_ldexp_f64 v[47:48], v[47:48], v1
	v_cndmask_b32_e64 v1, 0, 0xffffff80, vcc_lo
	v_rsq_f64_e32 v[53:54], v[47:48]
	v_cmp_class_f64_e64 vcc_lo, v[47:48], 0x260
	v_mul_f64 v[59:60], v[47:48], v[53:54]
	v_mul_f64 v[53:54], v[53:54], 0.5
	v_fma_f64 v[61:62], -v[53:54], v[59:60], 0.5
	v_fma_f64 v[59:60], v[59:60], v[61:62], v[59:60]
	v_fma_f64 v[53:54], v[53:54], v[61:62], v[53:54]
	v_fma_f64 v[61:62], -v[59:60], v[59:60], v[47:48]
	v_fma_f64 v[59:60], v[61:62], v[53:54], v[59:60]
	v_fma_f64 v[61:62], -v[59:60], v[59:60], v[47:48]
	v_fma_f64 v[53:54], v[61:62], v[53:54], v[59:60]
	v_ldexp_f64 v[53:54], v[53:54], v1
	v_cndmask_b32_e32 v48, v54, v48, vcc_lo
	v_cndmask_b32_e32 v47, v53, v47, vcc_lo
	v_div_scale_f64 v[53:54], null, v[47:48], v[47:48], 1.0
	v_rcp_f64_e32 v[59:60], v[53:54]
	v_fma_f64 v[61:62], -v[53:54], v[59:60], 1.0
	v_fma_f64 v[59:60], v[59:60], v[61:62], v[59:60]
	v_fma_f64 v[61:62], -v[53:54], v[59:60], 1.0
	v_fma_f64 v[59:60], v[59:60], v[61:62], v[59:60]
	v_div_scale_f64 v[61:62], vcc_lo, 1.0, v[47:48], 1.0
	v_mul_f64 v[63:64], v[61:62], v[59:60]
	v_fma_f64 v[53:54], -v[53:54], v[63:64], v[61:62]
	v_div_fmas_f64 v[53:54], v[53:54], v[59:60], v[63:64]
	v_div_fixup_f64 v[47:48], v[53:54], v[47:48], 1.0
	v_mul_f64 v[51:52], v[51:52], v[47:48]
.LBB12_183:                             ;   in Loop: Header=BB12_177 Depth=3
	s_or_b32 exec_lo, exec_lo, s85
	v_mul_f64 v[49:50], v[49:50], v[47:48]
	v_fma_f64 v[53:54], v[35:36], v[51:52], -v[49:50]
.LBB12_184:                             ;   in Loop: Header=BB12_177 Depth=3
	s_andn2_saveexec_b32 s84, s84
; %bb.185:                              ;   in Loop: Header=BB12_177 Depth=3
	v_mov_b32_e32 v51, 0
	v_mov_b32_e32 v47, 0
	;; [unrolled: 1-line block ×4, first 2 shown]
; %bb.186:                              ;   in Loop: Header=BB12_177 Depth=3
	s_or_b32 exec_lo, exec_lo, s84
	v_mov_b32_e32 v35, v53
	v_mov_b32_e32 v36, v54
.LBB12_187:                             ;   in Loop: Header=BB12_177 Depth=3
	s_or_b32 exec_lo, exec_lo, s83
	s_cmp_eq_u32 s81, 0
	s_cbranch_scc1 .LBB12_176
; %bb.188:                              ;   in Loop: Header=BB12_177 Depth=3
	global_store_dwordx2 v[45:46], v[35:36], off offset:8
	s_branch .LBB12_176
.LBB12_189:                             ;   in Loop: Header=BB12_151 Depth=2
	ds_write2_b32 v6, v0, v32 offset0:5 offset1:7
	s_cbranch_execz .LBB12_162
	s_branch .LBB12_163
.LBB12_190:                             ;   in Loop: Header=BB12_151 Depth=2
	s_or_b32 exec_lo, exec_lo, s82
	ds_write_b64 v6, v[37:38]
.LBB12_191:                             ;   in Loop: Header=BB12_151 Depth=2
	s_or_b32 exec_lo, exec_lo, s67
	global_load_dwordx2 v[45:46], v[33:34], off
.LBB12_192:                             ;   in Loop: Header=BB12_151 Depth=2
	s_or_b32 exec_lo, exec_lo, s3
	s_waitcnt vmcnt(0)
	v_add_f64 v[0:1], v[45:46], -v[37:38]
                                        ; implicit-def: $vgpr32
                                        ; implicit-def: $vgpr45_vgpr46
	global_store_dwordx2 v[33:34], v[0:1], off
	global_store_dwordx2 v[2:3], v[35:36], off
                                        ; implicit-def: $vgpr35_vgpr36
                                        ; implicit-def: $vgpr33_vgpr34
.LBB12_193:                             ;   in Loop: Header=BB12_151 Depth=2
	s_andn2_saveexec_b32 s58, s66
	s_cbranch_execz .LBB12_230
; %bb.194:                              ;   in Loop: Header=BB12_151 Depth=2
	v_add_co_u32 v37, vcc_lo, s10, v35
	v_add_co_ci_u32_e64 v38, null, s68, v36, vcc_lo
                                        ; implicit-def: $vgpr47_vgpr48
	global_load_dwordx2 v[0:1], v[33:34], off offset:8
	global_load_dwordx2 v[43:44], v[37:38], off
	s_waitcnt vmcnt(1)
	v_add_f64 v[41:42], v[45:46], -v[0:1]
	s_waitcnt vmcnt(0)
	v_add_f64 v[39:40], v[43:44], v[43:44]
	v_cmp_ngt_f64_e64 s3, |v[41:42]|, |v[39:40]|
	s_and_saveexec_b32 s59, s3
	s_xor_b32 s3, exec_lo, s59
	s_cbranch_execz .LBB12_200
; %bb.195:                              ;   in Loop: Header=BB12_151 Depth=2
	v_cmp_nlt_f64_e64 s59, |v[41:42]|, |v[39:40]|
                                        ; implicit-def: $vgpr47_vgpr48
	s_and_saveexec_b32 s60, s59
	s_xor_b32 s59, exec_lo, s60
; %bb.196:                              ;   in Loop: Header=BB12_151 Depth=2
	v_mul_f64 v[47:48], |v[39:40]|, s[56:57]
; %bb.197:                              ;   in Loop: Header=BB12_151 Depth=2
	s_andn2_saveexec_b32 s59, s59
	s_cbranch_execz .LBB12_199
; %bb.198:                              ;   in Loop: Header=BB12_151 Depth=2
	v_and_b32_e32 v3, 0x7fffffff, v42
	v_mov_b32_e32 v2, v41
	v_and_b32_e32 v48, 0x7fffffff, v40
	v_mov_b32_e32 v47, v39
	v_div_scale_f64 v[49:50], null, v[47:48], v[47:48], v[2:3]
	v_div_scale_f64 v[2:3], vcc_lo, v[2:3], v[47:48], v[2:3]
	v_rcp_f64_e32 v[51:52], v[49:50]
	v_fma_f64 v[53:54], -v[49:50], v[51:52], 1.0
	v_fma_f64 v[51:52], v[51:52], v[53:54], v[51:52]
	v_fma_f64 v[53:54], -v[49:50], v[51:52], 1.0
	v_fma_f64 v[47:48], v[51:52], v[53:54], v[51:52]
	v_mul_f64 v[51:52], v[2:3], v[47:48]
	v_fma_f64 v[2:3], -v[49:50], v[51:52], v[2:3]
	v_div_fmas_f64 v[2:3], v[2:3], v[47:48], v[51:52]
	v_div_fixup_f64 v[2:3], v[2:3], |v[39:40]|, |v[41:42]|
	v_fma_f64 v[2:3], v[2:3], v[2:3], 1.0
	v_cmp_gt_f64_e32 vcc_lo, 0x10000000, v[2:3]
	v_cndmask_b32_e64 v7, 0, 0x100, vcc_lo
	v_ldexp_f64 v[2:3], v[2:3], v7
	v_cndmask_b32_e64 v7, 0, 0xffffff80, vcc_lo
	v_rsq_f64_e32 v[47:48], v[2:3]
	v_cmp_class_f64_e64 vcc_lo, v[2:3], 0x260
	v_mul_f64 v[49:50], v[2:3], v[47:48]
	v_mul_f64 v[47:48], v[47:48], 0.5
	v_fma_f64 v[51:52], -v[47:48], v[49:50], 0.5
	v_fma_f64 v[49:50], v[49:50], v[51:52], v[49:50]
	v_fma_f64 v[47:48], v[47:48], v[51:52], v[47:48]
	v_fma_f64 v[51:52], -v[49:50], v[49:50], v[2:3]
	v_fma_f64 v[49:50], v[51:52], v[47:48], v[49:50]
	v_fma_f64 v[51:52], -v[49:50], v[49:50], v[2:3]
	v_fma_f64 v[47:48], v[51:52], v[47:48], v[49:50]
	v_ldexp_f64 v[47:48], v[47:48], v7
	v_cndmask_b32_e32 v3, v48, v3, vcc_lo
	v_cndmask_b32_e32 v2, v47, v2, vcc_lo
	v_mul_f64 v[47:48], |v[39:40]|, v[2:3]
.LBB12_199:                             ;   in Loop: Header=BB12_151 Depth=2
	s_or_b32 exec_lo, exec_lo, s59
.LBB12_200:                             ;   in Loop: Header=BB12_151 Depth=2
	s_andn2_saveexec_b32 s3, s3
	s_cbranch_execz .LBB12_202
; %bb.201:                              ;   in Loop: Header=BB12_151 Depth=2
	v_and_b32_e32 v3, 0x7fffffff, v40
	v_mov_b32_e32 v2, v39
	v_and_b32_e32 v48, 0x7fffffff, v42
	v_mov_b32_e32 v47, v41
	v_div_scale_f64 v[49:50], null, v[47:48], v[47:48], v[2:3]
	v_div_scale_f64 v[2:3], vcc_lo, v[2:3], v[47:48], v[2:3]
	v_rcp_f64_e32 v[51:52], v[49:50]
	v_fma_f64 v[53:54], -v[49:50], v[51:52], 1.0
	v_fma_f64 v[51:52], v[51:52], v[53:54], v[51:52]
	v_fma_f64 v[53:54], -v[49:50], v[51:52], 1.0
	v_fma_f64 v[47:48], v[51:52], v[53:54], v[51:52]
	v_mul_f64 v[51:52], v[2:3], v[47:48]
	v_fma_f64 v[2:3], -v[49:50], v[51:52], v[2:3]
	v_div_fmas_f64 v[2:3], v[2:3], v[47:48], v[51:52]
	v_div_fixup_f64 v[2:3], v[2:3], |v[41:42]|, |v[39:40]|
	v_fma_f64 v[2:3], v[2:3], v[2:3], 1.0
	v_cmp_gt_f64_e32 vcc_lo, 0x10000000, v[2:3]
	v_cndmask_b32_e64 v7, 0, 0x100, vcc_lo
	v_ldexp_f64 v[2:3], v[2:3], v7
	v_cndmask_b32_e64 v7, 0, 0xffffff80, vcc_lo
	v_rsq_f64_e32 v[47:48], v[2:3]
	v_cmp_class_f64_e64 vcc_lo, v[2:3], 0x260
	v_mul_f64 v[49:50], v[2:3], v[47:48]
	v_mul_f64 v[47:48], v[47:48], 0.5
	v_fma_f64 v[51:52], -v[47:48], v[49:50], 0.5
	v_fma_f64 v[49:50], v[49:50], v[51:52], v[49:50]
	v_fma_f64 v[47:48], v[47:48], v[51:52], v[47:48]
	v_fma_f64 v[51:52], -v[49:50], v[49:50], v[2:3]
	v_fma_f64 v[49:50], v[51:52], v[47:48], v[49:50]
	v_fma_f64 v[51:52], -v[49:50], v[49:50], v[2:3]
	v_fma_f64 v[47:48], v[51:52], v[47:48], v[49:50]
	v_ldexp_f64 v[47:48], v[47:48], v7
	v_cndmask_b32_e32 v3, v48, v3, vcc_lo
	v_cndmask_b32_e32 v2, v47, v2, vcc_lo
	v_mul_f64 v[47:48], |v[41:42]|, v[2:3]
.LBB12_202:                             ;   in Loop: Header=BB12_151 Depth=2
	s_or_b32 exec_lo, exec_lo, s3
	v_add_f64 v[51:52], v[45:46], v[0:1]
	v_cmp_gt_f64_e64 vcc_lo, |v[45:46]|, |v[0:1]|
	v_cmp_ngt_f64_e64 s3, 0, v[51:52]
	v_cndmask_b32_e32 v50, v46, v1, vcc_lo
	v_cndmask_b32_e32 v49, v45, v0, vcc_lo
	;; [unrolled: 1-line block ×4, first 2 shown]
                                        ; implicit-def: $vgpr2_vgpr3
	s_and_saveexec_b32 s59, s3
	s_xor_b32 s3, exec_lo, s59
	s_cbranch_execz .LBB12_208
; %bb.203:                              ;   in Loop: Header=BB12_151 Depth=2
	s_mov_b32 s59, exec_lo
                                        ; implicit-def: $vgpr2_vgpr3
	v_cmpx_nlt_f64_e32 0, v[51:52]
	s_xor_b32 s59, exec_lo, s59
	s_cbranch_execz .LBB12_205
; %bb.204:                              ;   in Loop: Header=BB12_151 Depth=2
	v_mul_f64 v[0:1], v[47:48], 0.5
	v_mul_f64 v[2:3], v[47:48], -0.5
                                        ; implicit-def: $vgpr51_vgpr52
                                        ; implicit-def: $vgpr45_vgpr46
                                        ; implicit-def: $vgpr43_vgpr44
                                        ; implicit-def: $vgpr49_vgpr50
.LBB12_205:                             ;   in Loop: Header=BB12_151 Depth=2
	s_andn2_saveexec_b32 s59, s59
	s_cbranch_execz .LBB12_207
; %bb.206:                              ;   in Loop: Header=BB12_151 Depth=2
	v_add_f64 v[0:1], v[51:52], v[47:48]
	v_mul_f64 v[0:1], v[0:1], 0.5
	v_div_scale_f64 v[2:3], null, v[0:1], v[0:1], v[45:46]
	v_rcp_f64_e32 v[51:52], v[2:3]
	v_fma_f64 v[53:54], -v[2:3], v[51:52], 1.0
	v_fma_f64 v[51:52], v[51:52], v[53:54], v[51:52]
	v_fma_f64 v[53:54], -v[2:3], v[51:52], 1.0
	v_fma_f64 v[51:52], v[51:52], v[53:54], v[51:52]
	v_div_scale_f64 v[53:54], vcc_lo, v[45:46], v[0:1], v[45:46]
	v_mul_f64 v[59:60], v[53:54], v[51:52]
	v_fma_f64 v[2:3], -v[2:3], v[59:60], v[53:54]
	v_div_fmas_f64 v[2:3], v[2:3], v[51:52], v[59:60]
	v_div_fixup_f64 v[2:3], v[2:3], v[0:1], v[45:46]
	v_div_scale_f64 v[45:46], null, v[0:1], v[0:1], v[43:44]
	v_rcp_f64_e32 v[51:52], v[45:46]
	v_fma_f64 v[53:54], -v[45:46], v[51:52], 1.0
	v_fma_f64 v[51:52], v[51:52], v[53:54], v[51:52]
	v_fma_f64 v[53:54], -v[45:46], v[51:52], 1.0
	v_fma_f64 v[51:52], v[51:52], v[53:54], v[51:52]
	v_div_scale_f64 v[53:54], vcc_lo, v[43:44], v[0:1], v[43:44]
	v_mul_f64 v[59:60], v[53:54], v[51:52]
	v_fma_f64 v[45:46], -v[45:46], v[59:60], v[53:54]
	v_div_fmas_f64 v[45:46], v[45:46], v[51:52], v[59:60]
	v_div_fixup_f64 v[45:46], v[45:46], v[0:1], v[43:44]
	v_mul_f64 v[43:44], v[43:44], v[45:46]
	v_fma_f64 v[2:3], v[49:50], v[2:3], -v[43:44]
.LBB12_207:                             ;   in Loop: Header=BB12_151 Depth=2
	s_or_b32 exec_lo, exec_lo, s59
                                        ; implicit-def: $vgpr51_vgpr52
                                        ; implicit-def: $vgpr45_vgpr46
                                        ; implicit-def: $vgpr43_vgpr44
                                        ; implicit-def: $vgpr49_vgpr50
.LBB12_208:                             ;   in Loop: Header=BB12_151 Depth=2
	s_or_saveexec_b32 s3, s3
	v_mov_b32_e32 v7, 1
	s_xor_b32 exec_lo, exec_lo, s3
	s_cbranch_execz .LBB12_210
; %bb.209:                              ;   in Loop: Header=BB12_151 Depth=2
	v_add_f64 v[0:1], v[51:52], -v[47:48]
	v_mov_b32_e32 v7, -1
	v_mul_f64 v[0:1], v[0:1], 0.5
	v_div_scale_f64 v[2:3], null, v[0:1], v[0:1], v[45:46]
	v_rcp_f64_e32 v[51:52], v[2:3]
	v_fma_f64 v[53:54], -v[2:3], v[51:52], 1.0
	v_fma_f64 v[51:52], v[51:52], v[53:54], v[51:52]
	v_fma_f64 v[53:54], -v[2:3], v[51:52], 1.0
	v_fma_f64 v[51:52], v[51:52], v[53:54], v[51:52]
	v_div_scale_f64 v[53:54], vcc_lo, v[45:46], v[0:1], v[45:46]
	v_mul_f64 v[59:60], v[53:54], v[51:52]
	v_fma_f64 v[2:3], -v[2:3], v[59:60], v[53:54]
	v_div_fmas_f64 v[2:3], v[2:3], v[51:52], v[59:60]
	v_div_fixup_f64 v[2:3], v[2:3], v[0:1], v[45:46]
	v_div_scale_f64 v[45:46], null, v[0:1], v[0:1], v[43:44]
	v_rcp_f64_e32 v[51:52], v[45:46]
	v_fma_f64 v[53:54], -v[45:46], v[51:52], 1.0
	v_fma_f64 v[51:52], v[51:52], v[53:54], v[51:52]
	v_fma_f64 v[53:54], -v[45:46], v[51:52], 1.0
	v_fma_f64 v[51:52], v[51:52], v[53:54], v[51:52]
	v_div_scale_f64 v[53:54], vcc_lo, v[43:44], v[0:1], v[43:44]
	v_mul_f64 v[59:60], v[53:54], v[51:52]
	v_fma_f64 v[45:46], -v[45:46], v[59:60], v[53:54]
	v_div_fmas_f64 v[45:46], v[45:46], v[51:52], v[59:60]
	v_div_fixup_f64 v[45:46], v[45:46], v[0:1], v[43:44]
	v_mul_f64 v[43:44], v[43:44], v[45:46]
	v_fma_f64 v[2:3], v[49:50], v[2:3], -v[43:44]
.LBB12_210:                             ;   in Loop: Header=BB12_151 Depth=2
	s_or_b32 exec_lo, exec_lo, s3
	s_mov_b32 s3, exec_lo
                                        ; implicit-def: $vgpr43_vgpr44
	v_cmpx_le_f64_e32 0, v[41:42]
	s_xor_b32 s3, exec_lo, s3
; %bb.211:                              ;   in Loop: Header=BB12_151 Depth=2
	v_add_f64 v[43:44], v[41:42], v[47:48]
                                        ; implicit-def: $vgpr41_vgpr42
                                        ; implicit-def: $vgpr47_vgpr48
; %bb.212:                              ;   in Loop: Header=BB12_151 Depth=2
	s_or_saveexec_b32 s3, s3
	v_mov_b32_e32 v49, 1
	s_xor_b32 exec_lo, exec_lo, s3
; %bb.213:                              ;   in Loop: Header=BB12_151 Depth=2
	v_add_f64 v[43:44], v[41:42], -v[47:48]
	v_mov_b32_e32 v49, -1
; %bb.214:                              ;   in Loop: Header=BB12_151 Depth=2
	s_or_b32 exec_lo, exec_lo, s3
	v_cmp_ngt_f64_e64 s3, |v[43:44]|, |v[39:40]|
                                        ; implicit-def: $vgpr45_vgpr46
                                        ; implicit-def: $vgpr41_vgpr42
	s_and_saveexec_b32 s59, s3
	s_xor_b32 s3, exec_lo, s59
	s_cbranch_execz .LBB12_218
; %bb.215:                              ;   in Loop: Header=BB12_151 Depth=2
	v_mov_b32_e32 v41, 0
	v_mov_b32_e32 v45, 0
	;; [unrolled: 1-line block ×4, first 2 shown]
	s_mov_b32 s59, exec_lo
	v_cmpx_neq_f64_e32 0, v[39:40]
	s_cbranch_execz .LBB12_217
; %bb.216:                              ;   in Loop: Header=BB12_151 Depth=2
	v_div_scale_f64 v[41:42], null, v[39:40], v[39:40], -v[43:44]
	v_div_scale_f64 v[50:51], vcc_lo, -v[43:44], v[39:40], -v[43:44]
	v_rcp_f64_e32 v[45:46], v[41:42]
	v_fma_f64 v[47:48], -v[41:42], v[45:46], 1.0
	v_fma_f64 v[45:46], v[45:46], v[47:48], v[45:46]
	v_fma_f64 v[47:48], -v[41:42], v[45:46], 1.0
	v_fma_f64 v[45:46], v[45:46], v[47:48], v[45:46]
	v_mul_f64 v[47:48], v[50:51], v[45:46]
	v_fma_f64 v[41:42], -v[41:42], v[47:48], v[50:51]
	v_div_fmas_f64 v[41:42], v[41:42], v[45:46], v[47:48]
	v_div_fixup_f64 v[39:40], v[41:42], v[39:40], -v[43:44]
	v_fma_f64 v[41:42], v[39:40], v[39:40], 1.0
	v_cmp_gt_f64_e32 vcc_lo, 0x10000000, v[41:42]
	v_cndmask_b32_e64 v43, 0, 0x100, vcc_lo
	v_ldexp_f64 v[41:42], v[41:42], v43
	v_rsq_f64_e32 v[43:44], v[41:42]
	v_mul_f64 v[45:46], v[41:42], v[43:44]
	v_mul_f64 v[43:44], v[43:44], 0.5
	v_fma_f64 v[47:48], -v[43:44], v[45:46], 0.5
	v_fma_f64 v[45:46], v[45:46], v[47:48], v[45:46]
	v_fma_f64 v[43:44], v[43:44], v[47:48], v[43:44]
	v_fma_f64 v[47:48], -v[45:46], v[45:46], v[41:42]
	v_fma_f64 v[45:46], v[47:48], v[43:44], v[45:46]
	v_fma_f64 v[47:48], -v[45:46], v[45:46], v[41:42]
	v_fma_f64 v[43:44], v[47:48], v[43:44], v[45:46]
	v_cndmask_b32_e64 v45, 0, 0xffffff80, vcc_lo
	v_cmp_class_f64_e64 vcc_lo, v[41:42], 0x260
	v_ldexp_f64 v[43:44], v[43:44], v45
	v_cndmask_b32_e32 v42, v44, v42, vcc_lo
	v_cndmask_b32_e32 v41, v43, v41, vcc_lo
	v_div_scale_f64 v[43:44], null, v[41:42], v[41:42], 1.0
	v_rcp_f64_e32 v[45:46], v[43:44]
	v_fma_f64 v[47:48], -v[43:44], v[45:46], 1.0
	v_fma_f64 v[45:46], v[45:46], v[47:48], v[45:46]
	v_fma_f64 v[47:48], -v[43:44], v[45:46], 1.0
	v_fma_f64 v[45:46], v[45:46], v[47:48], v[45:46]
	v_div_scale_f64 v[47:48], vcc_lo, 1.0, v[41:42], 1.0
	v_mul_f64 v[50:51], v[47:48], v[45:46]
	v_fma_f64 v[43:44], -v[43:44], v[50:51], v[47:48]
	v_div_fmas_f64 v[43:44], v[43:44], v[45:46], v[50:51]
	v_div_fixup_f64 v[45:46], v[43:44], v[41:42], 1.0
	v_mul_f64 v[41:42], v[39:40], v[45:46]
.LBB12_217:                             ;   in Loop: Header=BB12_151 Depth=2
	s_or_b32 exec_lo, exec_lo, s59
                                        ; implicit-def: $vgpr43_vgpr44
                                        ; implicit-def: $vgpr39_vgpr40
.LBB12_218:                             ;   in Loop: Header=BB12_151 Depth=2
	s_andn2_saveexec_b32 s3, s3
	s_cbranch_execz .LBB12_220
; %bb.219:                              ;   in Loop: Header=BB12_151 Depth=2
	v_div_scale_f64 v[41:42], null, v[43:44], v[43:44], -v[39:40]
	v_div_scale_f64 v[50:51], vcc_lo, -v[39:40], v[43:44], -v[39:40]
	v_rcp_f64_e32 v[45:46], v[41:42]
	v_fma_f64 v[47:48], -v[41:42], v[45:46], 1.0
	v_fma_f64 v[45:46], v[45:46], v[47:48], v[45:46]
	v_fma_f64 v[47:48], -v[41:42], v[45:46], 1.0
	v_fma_f64 v[45:46], v[45:46], v[47:48], v[45:46]
	v_mul_f64 v[47:48], v[50:51], v[45:46]
	v_fma_f64 v[41:42], -v[41:42], v[47:48], v[50:51]
	v_div_fmas_f64 v[41:42], v[41:42], v[45:46], v[47:48]
	v_div_fixup_f64 v[39:40], v[41:42], v[43:44], -v[39:40]
	v_fma_f64 v[41:42], v[39:40], v[39:40], 1.0
	v_cmp_gt_f64_e32 vcc_lo, 0x10000000, v[41:42]
	v_cndmask_b32_e64 v43, 0, 0x100, vcc_lo
	v_ldexp_f64 v[41:42], v[41:42], v43
	v_rsq_f64_e32 v[43:44], v[41:42]
	v_mul_f64 v[45:46], v[41:42], v[43:44]
	v_mul_f64 v[43:44], v[43:44], 0.5
	v_fma_f64 v[47:48], -v[43:44], v[45:46], 0.5
	v_fma_f64 v[45:46], v[45:46], v[47:48], v[45:46]
	v_fma_f64 v[43:44], v[43:44], v[47:48], v[43:44]
	v_fma_f64 v[47:48], -v[45:46], v[45:46], v[41:42]
	v_fma_f64 v[45:46], v[47:48], v[43:44], v[45:46]
	v_fma_f64 v[47:48], -v[45:46], v[45:46], v[41:42]
	v_fma_f64 v[43:44], v[47:48], v[43:44], v[45:46]
	v_cndmask_b32_e64 v45, 0, 0xffffff80, vcc_lo
	v_cmp_class_f64_e64 vcc_lo, v[41:42], 0x260
	v_ldexp_f64 v[43:44], v[43:44], v45
	v_cndmask_b32_e32 v42, v44, v42, vcc_lo
	v_cndmask_b32_e32 v41, v43, v41, vcc_lo
	v_div_scale_f64 v[43:44], null, v[41:42], v[41:42], 1.0
	v_rcp_f64_e32 v[45:46], v[43:44]
	v_fma_f64 v[47:48], -v[43:44], v[45:46], 1.0
	v_fma_f64 v[45:46], v[45:46], v[47:48], v[45:46]
	v_fma_f64 v[47:48], -v[43:44], v[45:46], 1.0
	v_fma_f64 v[45:46], v[45:46], v[47:48], v[45:46]
	v_div_scale_f64 v[47:48], vcc_lo, 1.0, v[41:42], 1.0
	v_mul_f64 v[50:51], v[47:48], v[45:46]
	v_fma_f64 v[43:44], -v[43:44], v[50:51], v[47:48]
	v_div_fmas_f64 v[43:44], v[43:44], v[45:46], v[50:51]
	v_div_fixup_f64 v[41:42], v[43:44], v[41:42], 1.0
	v_mul_f64 v[45:46], v[39:40], v[41:42]
.LBB12_220:                             ;   in Loop: Header=BB12_151 Depth=2
	s_or_b32 exec_lo, exec_lo, s3
	v_cmp_eq_u32_e32 vcc_lo, v7, v49
	v_xor_b32_e32 v7, 0x80000000, v42
	v_add_co_u32 v35, s3, s71, v35
	v_add_co_ci_u32_e64 v36, null, s72, v36, s3
	v_cndmask_b32_e32 v40, v42, v46, vcc_lo
	v_cndmask_b32_e32 v39, v41, v45, vcc_lo
	;; [unrolled: 1-line block ×4, first 2 shown]
	v_add_co_u32 v43, vcc_lo, v35, s42
	v_add_nc_u32_e32 v32, 2, v32
	v_add_co_ci_u32_e64 v44, null, s43, v36, vcc_lo
	v_mov_b32_e32 v7, v6
	global_store_dwordx2 v[35:36], v[41:42], off
	global_store_dwordx2 v[43:44], v[39:40], off offset:-8
	global_store_dwordx4 v[33:34], v[0:3], off
	global_store_dwordx2 v[37:38], v[6:7], off
	ds_write_b32 v6, v32 offset:16
	s_or_b32 exec_lo, exec_lo, s58
                                        ; implicit-def: $vgpr1
.LBB12_221:                             ;   in Loop: Header=BB12_151 Depth=2
	s_andn2_saveexec_b32 s3, s54
.LBB12_222:                             ;   in Loop: Header=BB12_151 Depth=2
	ds_write_b32 v6, v1 offset:16
.LBB12_223:                             ;   in Loop: Header=BB12_151 Depth=2
	s_or_b32 exec_lo, exec_lo, s3
.LBB12_224:                             ;   in Loop: Header=BB12_151 Depth=2
	s_or_b32 exec_lo, exec_lo, s37
	s_waitcnt lgkmcnt(0)
	s_waitcnt_vscnt null, 0x0
	s_barrier
	buffer_gl0_inv
	ds_read_b64 v[0:1], v6 offset:16
	s_waitcnt lgkmcnt(0)
	v_readfirstlane_b32 s3, v1
	v_cmp_eq_u32_e32 vcc_lo, s3, v0
	v_mov_b32_e32 v32, s3
	s_cbranch_vccnz .LBB12_150
; %bb.225:                              ;   in Loop: Header=BB12_151 Depth=2
	s_and_saveexec_b32 s37, s1
	s_cbranch_execz .LBB12_149
; %bb.226:                              ;   in Loop: Header=BB12_151 Depth=2
	ds_read_b32 v0, v6 offset:28
	v_mov_b32_e32 v32, v4
	s_waitcnt lgkmcnt(0)
	v_readfirstlane_b32 s54, v0
	v_ashrrev_i32_e32 v1, 31, v0
	s_mul_i32 s58, s54, s11
	v_lshlrev_b64 v[0:1], 3, v[0:1]
	s_ashr_i32 s59, s58, 31
	s_lshl_b64 s[64:65], s[58:59], 3
	s_add_u32 s58, s69, s64
	s_addc_u32 s59, s70, s65
	s_sub_i32 s60, s3, s54
	s_mul_hi_i32 s63, s60, s40
	s_mul_i32 s62, s60, s40
	s_lshl_b64 s[62:63], s[62:63], 3
	s_add_u32 s61, s58, s62
	s_addc_u32 s62, s59, s63
	s_cmp_gt_i32 s60, 0
	s_cselect_b32 s63, -1, 0
	s_add_i32 s54, s60, -1
	s_lshl_b64 s[66:67], s[54:55], 3
	s_mul_i32 s3, s53, s54
	s_mul_hi_u32 s81, s52, s54
	s_mul_i32 s54, s52, s54
	v_add_co_u32 v2, vcc_lo, v0, s66
	s_add_i32 s81, s81, s3
	s_add_u32 s3, s54, s64
	v_add_co_ci_u32_e64 v3, null, s67, v1, vcc_lo
	s_addc_u32 s54, s81, s65
	v_add_co_u32 v0, vcc_lo, v5, s3
	v_add_co_ci_u32_e64 v1, null, s54, v55, vcc_lo
	v_add_co_u32 v2, vcc_lo, s71, v2
	v_add_co_ci_u32_e64 v3, null, s72, v3, vcc_lo
	s_mov_b32 s54, 0
	s_branch .LBB12_228
.LBB12_227:                             ;   in Loop: Header=BB12_228 Depth=3
	v_add_nc_u32_e32 v32, s30, v32
	v_add_co_u32 v0, s3, v0, s44
	v_add_co_ci_u32_e64 v1, null, s45, v1, s3
	v_cmp_le_i32_e32 vcc_lo, s6, v32
	s_waitcnt vmcnt(0)
	global_store_dwordx2 v[35:36], v[33:34], off
	s_or_b32 s54, vcc_lo, s54
	s_andn2_b32 exec_lo, exec_lo, s54
	s_cbranch_execz .LBB12_149
.LBB12_228:                             ;   Parent Loop BB12_7 Depth=1
                                        ;     Parent Loop BB12_151 Depth=2
                                        ; =>    This Loop Header: Depth=3
                                        ;         Child Loop BB12_229 Depth 4
	v_ashrrev_i32_e32 v33, 31, v32
	v_mov_b32_e32 v38, v1
	v_mov_b32_e32 v40, v3
	;; [unrolled: 1-line block ×4, first 2 shown]
	v_lshlrev_b64 v[35:36], 3, v[32:33]
	s_mov_b32 s3, s60
	v_add_co_u32 v33, vcc_lo, s61, v35
	v_add_co_ci_u32_e64 v34, null, s62, v36, vcc_lo
	v_add_co_u32 v35, vcc_lo, s58, v35
	v_add_co_ci_u32_e64 v36, null, s59, v36, vcc_lo
	global_load_dwordx2 v[33:34], v[33:34], off
	s_andn2_b32 vcc_lo, exec_lo, s63
	s_cbranch_vccnz .LBB12_227
	.p2align	6
.LBB12_229:                             ;   Parent Loop BB12_7 Depth=1
                                        ;     Parent Loop BB12_151 Depth=2
                                        ;       Parent Loop BB12_228 Depth=3
                                        ; =>      This Inner Loop Header: Depth=4
	v_add_co_u32 v41, vcc_lo, v39, s7
	v_add_co_ci_u32_e64 v42, null, s31, v40, vcc_lo
	s_mul_i32 s65, s3, s41
	s_mul_hi_u32 s67, s3, s40
	global_load_dwordx2 v[43:44], v[37:38], off
	s_clause 0x1
	global_load_dwordx2 v[41:42], v[41:42], off
	global_load_dwordx2 v[45:46], v[39:40], off
	s_mul_i32 s64, s3, s40
	s_add_i32 s65, s67, s65
	v_add_co_u32 v39, vcc_lo, v39, -8
	s_lshl_b64 s[64:65], s[64:65], 3
	s_add_i32 s66, s3, -1
	v_add_co_ci_u32_e64 v40, null, -1, v40, vcc_lo
	v_add_co_u32 v37, vcc_lo, v37, s77
	v_add_co_ci_u32_e64 v38, null, s78, v38, vcc_lo
	s_cmp_eq_u32 s66, 0
	s_waitcnt vmcnt(1)
	v_mul_f64 v[47:48], v[41:42], v[43:44]
	s_waitcnt vmcnt(0)
	v_mul_f64 v[43:44], v[45:46], v[43:44]
	v_fma_f64 v[45:46], v[33:34], v[45:46], -v[47:48]
	v_fma_f64 v[33:34], v[33:34], v[41:42], v[43:44]
	v_add_co_u32 v41, s3, v35, s64
	v_add_co_ci_u32_e64 v42, null, s65, v36, s3
	s_mov_b32 s3, s66
	global_store_dwordx2 v[41:42], v[45:46], off
	s_cbranch_scc0 .LBB12_229
	s_branch .LBB12_227
.LBB12_230:                             ;   in Loop: Header=BB12_151 Depth=2
	s_or_b32 exec_lo, exec_lo, s58
                                        ; implicit-def: $vgpr1
	s_andn2_saveexec_b32 s3, s54
	s_cbranch_execnz .LBB12_222
	s_branch .LBB12_223
.LBB12_231:
	s_mov_b32 s7, exec_lo
	v_cmpx_gt_i32_e64 s36, v4
	s_cbranch_execz .LBB12_237
; %bb.232:
	v_ashrrev_i32_e32 v5, 31, v4
	s_lshl_b64 s[2:3], s[28:29], 2
	v_mov_b32_e32 v2, 0
	s_add_u32 s2, s14, s2
	s_addc_u32 s3, s15, s3
	v_lshlrev_b64 v[0:1], 3, v[4:5]
	s_lshl_b64 s[4:5], s[38:39], 3
	s_mov_b32 s10, 0
	s_add_u32 s1, s20, s4
	s_addc_u32 s4, s21, s5
	s_ashr_i32 s31, s30, 31
	v_add_co_u32 v0, vcc_lo, s1, v0
	v_add_co_ci_u32_e64 v1, null, s4, v1, vcc_lo
	s_lshl_b64 s[4:5], s[30:31], 3
	s_inst_prefetch 0x1
	s_branch .LBB12_234
	.p2align	6
.LBB12_233:                             ;   in Loop: Header=BB12_234 Depth=1
	s_or_b32 exec_lo, exec_lo, s1
	v_add_nc_u32_e32 v4, s30, v4
	v_add_co_u32 v0, s1, v0, s4
	v_add_co_ci_u32_e64 v1, null, s5, v1, s1
	v_cmp_le_i32_e32 vcc_lo, s36, v4
	s_or_b32 s10, vcc_lo, s10
	s_andn2_b32 exec_lo, exec_lo, s10
	s_cbranch_execz .LBB12_237
.LBB12_234:                             ; =>This Inner Loop Header: Depth=1
	global_load_dwordx2 v[5:6], v[0:1], off
	s_mov_b32 s1, exec_lo
	s_waitcnt vmcnt(0)
	v_cmpx_neq_f64_e32 0, v[5:6]
	s_cbranch_execz .LBB12_233
; %bb.235:                              ;   in Loop: Header=BB12_234 Depth=1
	s_mov_b32 s14, exec_lo
	v_mbcnt_lo_u32_b32 v3, s14, 0
	v_cmp_eq_u32_e32 vcc_lo, 0, v3
	s_and_b32 s15, exec_lo, vcc_lo
	s_mov_b32 exec_lo, s15
	s_cbranch_execz .LBB12_233
; %bb.236:                              ;   in Loop: Header=BB12_234 Depth=1
	s_bcnt1_i32_b32 s14, s14
	v_mov_b32_e32 v3, s14
	global_atomic_add v2, v3, s[2:3]
	s_branch .LBB12_233
.LBB12_237:
	s_inst_prefetch 0x2
	s_or_b32 exec_lo, exec_lo, s7
	s_cmp_lt_i32 s6, 2
	s_cbranch_scc1 .LBB12_250
; %bb.238:
	s_add_u32 s1, s16, s22
	s_addc_u32 s3, s17, s23
	s_add_u32 s2, s1, 8
	s_addc_u32 s3, s3, 0
	s_lshl_b64 s[4:5], s[12:13], 3
	s_lshl_b64 s[12:13], s[34:35], 3
	v_mov_b32_e32 v6, 0
	s_add_u32 s1, s4, s12
	s_addc_u32 s4, s5, s13
	s_add_u32 s1, s8, s1
	s_addc_u32 s7, s9, s4
	s_mov_b32 s4, 1
	s_branch .LBB12_240
.LBB12_239:                             ;   in Loop: Header=BB12_240 Depth=1
	s_add_i32 s4, s4, 1
	s_add_u32 s2, s2, 8
	s_addc_u32 s3, s3, 0
	s_cmp_lg_u32 s4, s6
	s_waitcnt_vscnt null, 0x0
	s_barrier
	buffer_gl0_inv
	s_cbranch_scc0 .LBB12_250
.LBB12_240:                             ; =>This Loop Header: Depth=1
                                        ;     Child Loop BB12_243 Depth 2
                                        ;     Child Loop BB12_249 Depth 2
	s_and_saveexec_b32 s10, s0
	s_cbranch_execz .LBB12_247
; %bb.241:                              ;   in Loop: Header=BB12_240 Depth=1
	s_ashr_i32 s5, s4, 31
	s_mov_b64 s[14:15], s[2:3]
	s_lshl_b64 s[8:9], s[4:5], 3
	s_add_i32 s5, s4, -1
	s_add_u32 s8, s18, s8
	s_addc_u32 s9, s19, s9
	v_mov_b32_e32 v4, s5
	global_load_dwordx2 v[0:1], v6, s[8:9] offset:-8
	v_mov_b32_e32 v5, s5
	s_mov_b32 s12, s5
	s_mov_b32 s13, s4
	s_waitcnt vmcnt(0)
	v_mov_b32_e32 v3, v1
	v_mov_b32_e32 v2, v0
	ds_write2_b64 v6, v[0:1], v[4:5] offset1:2
	s_branch .LBB12_243
	.p2align	6
.LBB12_242:                             ;   in Loop: Header=BB12_243 Depth=2
	s_add_i32 s13, s13, 1
	s_add_u32 s14, s14, 8
	s_addc_u32 s15, s15, 0
	s_cmp_eq_u32 s6, s13
	s_cbranch_scc1 .LBB12_245
.LBB12_243:                             ;   Parent Loop BB12_240 Depth=1
                                        ; =>  This Inner Loop Header: Depth=2
	global_load_dwordx2 v[4:5], v6, s[14:15]
	s_waitcnt vmcnt(0)
	v_cmp_nlt_f64_e32 vcc_lo, v[4:5], v[2:3]
	s_cbranch_vccnz .LBB12_242
; %bb.244:                              ;   in Loop: Header=BB12_243 Depth=2
	v_mov_b32_e32 v2, v4
	v_mov_b32_e32 v7, s13
	;; [unrolled: 1-line block ×3, first 2 shown]
	s_mov_b32 s12, s13
	ds_write_b32 v6, v7 offset:20
	ds_write_b64 v6, v[4:5]
	s_branch .LBB12_242
.LBB12_245:                             ;   in Loop: Header=BB12_240 Depth=1
	s_cmp_lg_u32 s12, s5
	s_cbranch_scc0 .LBB12_247
; %bb.246:                              ;   in Loop: Header=BB12_240 Depth=1
	s_ashr_i32 s13, s12, 31
	s_lshl_b64 s[12:13], s[12:13], 3
	s_add_u32 s12, s18, s12
	s_addc_u32 s13, s19, s13
	global_store_dwordx2 v6, v[0:1], s[12:13]
	global_store_dwordx2 v6, v[2:3], s[8:9] offset:-8
.LBB12_247:                             ;   in Loop: Header=BB12_240 Depth=1
	s_or_b32 exec_lo, exec_lo, s10
	s_waitcnt lgkmcnt(0)
	s_waitcnt_vscnt null, 0x0
	s_barrier
	buffer_gl0_inv
	ds_read_b64 v[0:1], v6 offset:16
	s_waitcnt lgkmcnt(0)
	v_readfirstlane_b32 s5, v0
	v_readfirstlane_b32 s8, v1
	s_cmp_eq_u32 s8, s5
	s_cbranch_scc1 .LBB12_239
; %bb.248:                              ;   in Loop: Header=BB12_240 Depth=1
	s_mul_i32 s8, s8, s11
	s_mul_i32 s12, s5, s11
	s_ashr_i32 s9, s8, 31
	s_mov_b32 s5, s6
	s_lshl_b64 s[8:9], s[8:9], 3
	s_add_u32 s8, s1, s8
	s_addc_u32 s9, s7, s9
	s_ashr_i32 s13, s12, 31
	s_lshl_b64 s[12:13], s[12:13], 3
	s_add_u32 s12, s1, s12
	s_addc_u32 s13, s7, s13
.LBB12_249:                             ;   Parent Loop BB12_240 Depth=1
                                        ; =>  This Inner Loop Header: Depth=2
	s_clause 0x1
	global_load_dwordx2 v[0:1], v6, s[8:9]
	global_load_dwordx2 v[2:3], v6, s[12:13]
	s_add_i32 s5, s5, -1
	s_waitcnt vmcnt(1)
	global_store_dwordx2 v6, v[0:1], s[12:13]
	s_waitcnt vmcnt(0)
	global_store_dwordx2 v6, v[2:3], s[8:9]
	s_add_u32 s8, s8, 8
	s_addc_u32 s9, s9, 0
	s_add_u32 s12, s12, 8
	s_addc_u32 s13, s13, 0
	s_cmp_lg_u32 s5, 0
	s_cbranch_scc1 .LBB12_249
	s_branch .LBB12_239
.LBB12_250:
	s_endpgm
	.section	.rodata,"a",@progbits
	.p2align	6, 0x0
	.amdhsa_kernel _ZN9rocsolver6v33100L12steqr_kernelIddPdEEviPT0_lS4_lT1_iilPiS4_iS3_S3_S3_
		.amdhsa_group_segment_fixed_size 48
		.amdhsa_private_segment_fixed_size 0
		.amdhsa_kernarg_size 368
		.amdhsa_user_sgpr_count 6
		.amdhsa_user_sgpr_private_segment_buffer 1
		.amdhsa_user_sgpr_dispatch_ptr 0
		.amdhsa_user_sgpr_queue_ptr 0
		.amdhsa_user_sgpr_kernarg_segment_ptr 1
		.amdhsa_user_sgpr_dispatch_id 0
		.amdhsa_user_sgpr_flat_scratch_init 0
		.amdhsa_user_sgpr_private_segment_size 0
		.amdhsa_wavefront_size32 1
		.amdhsa_uses_dynamic_stack 0
		.amdhsa_system_sgpr_private_segment_wavefront_offset 0
		.amdhsa_system_sgpr_workgroup_id_x 1
		.amdhsa_system_sgpr_workgroup_id_y 1
		.amdhsa_system_sgpr_workgroup_id_z 0
		.amdhsa_system_sgpr_workgroup_info 0
		.amdhsa_system_vgpr_workitem_id 0
		.amdhsa_next_free_vgpr 65
		.amdhsa_next_free_sgpr 87
		.amdhsa_reserve_vcc 1
		.amdhsa_reserve_flat_scratch 0
		.amdhsa_float_round_mode_32 0
		.amdhsa_float_round_mode_16_64 0
		.amdhsa_float_denorm_mode_32 3
		.amdhsa_float_denorm_mode_16_64 3
		.amdhsa_dx10_clamp 1
		.amdhsa_ieee_mode 1
		.amdhsa_fp16_overflow 0
		.amdhsa_workgroup_processor_mode 1
		.amdhsa_memory_ordered 1
		.amdhsa_forward_progress 1
		.amdhsa_shared_vgpr_count 0
		.amdhsa_exception_fp_ieee_invalid_op 0
		.amdhsa_exception_fp_denorm_src 0
		.amdhsa_exception_fp_ieee_div_zero 0
		.amdhsa_exception_fp_ieee_overflow 0
		.amdhsa_exception_fp_ieee_underflow 0
		.amdhsa_exception_fp_ieee_inexact 0
		.amdhsa_exception_int_div_zero 0
	.end_amdhsa_kernel
	.section	.text._ZN9rocsolver6v33100L12steqr_kernelIddPdEEviPT0_lS4_lT1_iilPiS4_iS3_S3_S3_,"axG",@progbits,_ZN9rocsolver6v33100L12steqr_kernelIddPdEEviPT0_lS4_lT1_iilPiS4_iS3_S3_S3_,comdat
.Lfunc_end12:
	.size	_ZN9rocsolver6v33100L12steqr_kernelIddPdEEviPT0_lS4_lT1_iilPiS4_iS3_S3_S3_, .Lfunc_end12-_ZN9rocsolver6v33100L12steqr_kernelIddPdEEviPT0_lS4_lT1_iilPiS4_iS3_S3_S3_
                                        ; -- End function
	.set _ZN9rocsolver6v33100L12steqr_kernelIddPdEEviPT0_lS4_lT1_iilPiS4_iS3_S3_S3_.num_vgpr, 65
	.set _ZN9rocsolver6v33100L12steqr_kernelIddPdEEviPT0_lS4_lT1_iilPiS4_iS3_S3_S3_.num_agpr, 0
	.set _ZN9rocsolver6v33100L12steqr_kernelIddPdEEviPT0_lS4_lT1_iilPiS4_iS3_S3_S3_.numbered_sgpr, 87
	.set _ZN9rocsolver6v33100L12steqr_kernelIddPdEEviPT0_lS4_lT1_iilPiS4_iS3_S3_S3_.num_named_barrier, 0
	.set _ZN9rocsolver6v33100L12steqr_kernelIddPdEEviPT0_lS4_lT1_iilPiS4_iS3_S3_S3_.private_seg_size, 0
	.set _ZN9rocsolver6v33100L12steqr_kernelIddPdEEviPT0_lS4_lT1_iilPiS4_iS3_S3_S3_.uses_vcc, 1
	.set _ZN9rocsolver6v33100L12steqr_kernelIddPdEEviPT0_lS4_lT1_iilPiS4_iS3_S3_S3_.uses_flat_scratch, 0
	.set _ZN9rocsolver6v33100L12steqr_kernelIddPdEEviPT0_lS4_lT1_iilPiS4_iS3_S3_S3_.has_dyn_sized_stack, 0
	.set _ZN9rocsolver6v33100L12steqr_kernelIddPdEEviPT0_lS4_lT1_iilPiS4_iS3_S3_S3_.has_recursion, 0
	.set _ZN9rocsolver6v33100L12steqr_kernelIddPdEEviPT0_lS4_lT1_iilPiS4_iS3_S3_S3_.has_indirect_call, 0
	.section	.AMDGPU.csdata,"",@progbits
; Kernel info:
; codeLenInByte = 15780
; TotalNumSgprs: 89
; NumVgprs: 65
; ScratchSize: 0
; MemoryBound: 0
; FloatMode: 240
; IeeeMode: 1
; LDSByteSize: 48 bytes/workgroup (compile time only)
; SGPRBlocks: 0
; VGPRBlocks: 8
; NumSGPRsForWavesPerEU: 89
; NumVGPRsForWavesPerEU: 65
; Occupancy: 12
; WaveLimiterHint : 0
; COMPUTE_PGM_RSRC2:SCRATCH_EN: 0
; COMPUTE_PGM_RSRC2:USER_SGPR: 6
; COMPUTE_PGM_RSRC2:TRAP_HANDLER: 0
; COMPUTE_PGM_RSRC2:TGID_X_EN: 1
; COMPUTE_PGM_RSRC2:TGID_Y_EN: 1
; COMPUTE_PGM_RSRC2:TGID_Z_EN: 0
; COMPUTE_PGM_RSRC2:TIDIG_COMP_CNT: 0
	.section	.text._ZN9rocsolver6v33100L16reset_batch_infoI19rocblas_complex_numIfEiiPS3_EEvT2_lT0_T1_,"axG",@progbits,_ZN9rocsolver6v33100L16reset_batch_infoI19rocblas_complex_numIfEiiPS3_EEvT2_lT0_T1_,comdat
	.globl	_ZN9rocsolver6v33100L16reset_batch_infoI19rocblas_complex_numIfEiiPS3_EEvT2_lT0_T1_ ; -- Begin function _ZN9rocsolver6v33100L16reset_batch_infoI19rocblas_complex_numIfEiiPS3_EEvT2_lT0_T1_
	.p2align	8
	.type	_ZN9rocsolver6v33100L16reset_batch_infoI19rocblas_complex_numIfEiiPS3_EEvT2_lT0_T1_,@function
_ZN9rocsolver6v33100L16reset_batch_infoI19rocblas_complex_numIfEiiPS3_EEvT2_lT0_T1_: ; @_ZN9rocsolver6v33100L16reset_batch_infoI19rocblas_complex_numIfEiiPS3_EEvT2_lT0_T1_
; %bb.0:
	s_clause 0x1
	s_load_dword s2, s[4:5], 0x24
	s_load_dwordx2 s[0:1], s[4:5], 0x10
	s_waitcnt lgkmcnt(0)
	s_and_b32 s2, s2, 0xffff
	v_mad_u64_u32 v[0:1], null, s6, s2, v[0:1]
	v_cmp_gt_i32_e32 vcc_lo, s0, v0
	s_and_saveexec_b32 s0, vcc_lo
	s_cbranch_execz .LBB13_2
; %bb.1:
	s_load_dwordx4 s[8:11], s[4:5], 0x0
	s_ashr_i32 s0, s7, 31
	v_ashrrev_i32_e32 v1, 31, v0
	v_cvt_f32_i32_e32 v2, s1
	v_mov_b32_e32 v3, 0
	v_lshlrev_b64 v[0:1], 3, v[0:1]
	s_waitcnt lgkmcnt(0)
	s_mul_hi_u32 s2, s10, s7
	s_mul_i32 s0, s10, s0
	s_mul_i32 s3, s11, s7
	s_add_i32 s0, s2, s0
	s_mul_i32 s2, s10, s7
	s_add_i32 s3, s0, s3
	s_lshl_b64 s[2:3], s[2:3], 3
	s_add_u32 s0, s8, s2
	s_addc_u32 s1, s9, s3
	v_add_co_u32 v0, vcc_lo, s0, v0
	v_add_co_ci_u32_e64 v1, null, s1, v1, vcc_lo
	global_store_dwordx2 v[0:1], v[2:3], off
.LBB13_2:
	s_endpgm
	.section	.rodata,"a",@progbits
	.p2align	6, 0x0
	.amdhsa_kernel _ZN9rocsolver6v33100L16reset_batch_infoI19rocblas_complex_numIfEiiPS3_EEvT2_lT0_T1_
		.amdhsa_group_segment_fixed_size 0
		.amdhsa_private_segment_fixed_size 0
		.amdhsa_kernarg_size 280
		.amdhsa_user_sgpr_count 6
		.amdhsa_user_sgpr_private_segment_buffer 1
		.amdhsa_user_sgpr_dispatch_ptr 0
		.amdhsa_user_sgpr_queue_ptr 0
		.amdhsa_user_sgpr_kernarg_segment_ptr 1
		.amdhsa_user_sgpr_dispatch_id 0
		.amdhsa_user_sgpr_flat_scratch_init 0
		.amdhsa_user_sgpr_private_segment_size 0
		.amdhsa_wavefront_size32 1
		.amdhsa_uses_dynamic_stack 0
		.amdhsa_system_sgpr_private_segment_wavefront_offset 0
		.amdhsa_system_sgpr_workgroup_id_x 1
		.amdhsa_system_sgpr_workgroup_id_y 1
		.amdhsa_system_sgpr_workgroup_id_z 0
		.amdhsa_system_sgpr_workgroup_info 0
		.amdhsa_system_vgpr_workitem_id 0
		.amdhsa_next_free_vgpr 4
		.amdhsa_next_free_sgpr 12
		.amdhsa_reserve_vcc 1
		.amdhsa_reserve_flat_scratch 0
		.amdhsa_float_round_mode_32 0
		.amdhsa_float_round_mode_16_64 0
		.amdhsa_float_denorm_mode_32 3
		.amdhsa_float_denorm_mode_16_64 3
		.amdhsa_dx10_clamp 1
		.amdhsa_ieee_mode 1
		.amdhsa_fp16_overflow 0
		.amdhsa_workgroup_processor_mode 1
		.amdhsa_memory_ordered 1
		.amdhsa_forward_progress 1
		.amdhsa_shared_vgpr_count 0
		.amdhsa_exception_fp_ieee_invalid_op 0
		.amdhsa_exception_fp_denorm_src 0
		.amdhsa_exception_fp_ieee_div_zero 0
		.amdhsa_exception_fp_ieee_overflow 0
		.amdhsa_exception_fp_ieee_underflow 0
		.amdhsa_exception_fp_ieee_inexact 0
		.amdhsa_exception_int_div_zero 0
	.end_amdhsa_kernel
	.section	.text._ZN9rocsolver6v33100L16reset_batch_infoI19rocblas_complex_numIfEiiPS3_EEvT2_lT0_T1_,"axG",@progbits,_ZN9rocsolver6v33100L16reset_batch_infoI19rocblas_complex_numIfEiiPS3_EEvT2_lT0_T1_,comdat
.Lfunc_end13:
	.size	_ZN9rocsolver6v33100L16reset_batch_infoI19rocblas_complex_numIfEiiPS3_EEvT2_lT0_T1_, .Lfunc_end13-_ZN9rocsolver6v33100L16reset_batch_infoI19rocblas_complex_numIfEiiPS3_EEvT2_lT0_T1_
                                        ; -- End function
	.set _ZN9rocsolver6v33100L16reset_batch_infoI19rocblas_complex_numIfEiiPS3_EEvT2_lT0_T1_.num_vgpr, 4
	.set _ZN9rocsolver6v33100L16reset_batch_infoI19rocblas_complex_numIfEiiPS3_EEvT2_lT0_T1_.num_agpr, 0
	.set _ZN9rocsolver6v33100L16reset_batch_infoI19rocblas_complex_numIfEiiPS3_EEvT2_lT0_T1_.numbered_sgpr, 12
	.set _ZN9rocsolver6v33100L16reset_batch_infoI19rocblas_complex_numIfEiiPS3_EEvT2_lT0_T1_.num_named_barrier, 0
	.set _ZN9rocsolver6v33100L16reset_batch_infoI19rocblas_complex_numIfEiiPS3_EEvT2_lT0_T1_.private_seg_size, 0
	.set _ZN9rocsolver6v33100L16reset_batch_infoI19rocblas_complex_numIfEiiPS3_EEvT2_lT0_T1_.uses_vcc, 1
	.set _ZN9rocsolver6v33100L16reset_batch_infoI19rocblas_complex_numIfEiiPS3_EEvT2_lT0_T1_.uses_flat_scratch, 0
	.set _ZN9rocsolver6v33100L16reset_batch_infoI19rocblas_complex_numIfEiiPS3_EEvT2_lT0_T1_.has_dyn_sized_stack, 0
	.set _ZN9rocsolver6v33100L16reset_batch_infoI19rocblas_complex_numIfEiiPS3_EEvT2_lT0_T1_.has_recursion, 0
	.set _ZN9rocsolver6v33100L16reset_batch_infoI19rocblas_complex_numIfEiiPS3_EEvT2_lT0_T1_.has_indirect_call, 0
	.section	.AMDGPU.csdata,"",@progbits
; Kernel info:
; codeLenInByte = 152
; TotalNumSgprs: 14
; NumVgprs: 4
; ScratchSize: 0
; MemoryBound: 0
; FloatMode: 240
; IeeeMode: 1
; LDSByteSize: 0 bytes/workgroup (compile time only)
; SGPRBlocks: 0
; VGPRBlocks: 0
; NumSGPRsForWavesPerEU: 14
; NumVGPRsForWavesPerEU: 4
; Occupancy: 16
; WaveLimiterHint : 0
; COMPUTE_PGM_RSRC2:SCRATCH_EN: 0
; COMPUTE_PGM_RSRC2:USER_SGPR: 6
; COMPUTE_PGM_RSRC2:TRAP_HANDLER: 0
; COMPUTE_PGM_RSRC2:TGID_X_EN: 1
; COMPUTE_PGM_RSRC2:TGID_Y_EN: 1
; COMPUTE_PGM_RSRC2:TGID_Z_EN: 0
; COMPUTE_PGM_RSRC2:TIDIG_COMP_CNT: 0
	.section	.text._ZN9rocsolver6v33100L10init_identI19rocblas_complex_numIfEPS3_EEviiT0_iil,"axG",@progbits,_ZN9rocsolver6v33100L10init_identI19rocblas_complex_numIfEPS3_EEviiT0_iil,comdat
	.globl	_ZN9rocsolver6v33100L10init_identI19rocblas_complex_numIfEPS3_EEviiT0_iil ; -- Begin function _ZN9rocsolver6v33100L10init_identI19rocblas_complex_numIfEPS3_EEviiT0_iil
	.p2align	8
	.type	_ZN9rocsolver6v33100L10init_identI19rocblas_complex_numIfEPS3_EEviiT0_iil,@function
_ZN9rocsolver6v33100L10init_identI19rocblas_complex_numIfEPS3_EEviiT0_iil: ; @_ZN9rocsolver6v33100L10init_identI19rocblas_complex_numIfEPS3_EEviiT0_iil
; %bb.0:
	s_clause 0x1
	s_load_dword s2, s[4:5], 0x2c
	s_load_dwordx2 s[0:1], s[4:5], 0x0
	s_waitcnt lgkmcnt(0)
	s_lshr_b32 s3, s2, 16
	s_and_b32 s2, s2, 0xffff
	v_mad_u64_u32 v[3:4], null, s6, s2, v[0:1]
	v_mad_u64_u32 v[1:2], null, s7, s3, v[1:2]
	v_cmp_gt_u32_e32 vcc_lo, s0, v3
	v_cmp_gt_u32_e64 s0, s1, v1
	s_and_b32 s0, vcc_lo, s0
	s_and_saveexec_b32 s1, s0
	s_cbranch_execz .LBB14_6
; %bb.1:
	s_load_dwordx2 s[0:1], s[4:5], 0x10
	s_mov_b32 s2, exec_lo
                                        ; implicit-def: $vgpr0
	v_cmpx_ne_u32_e64 v3, v1
	s_xor_b32 s2, exec_lo, s2
	s_cbranch_execz .LBB14_3
; %bb.2:
	s_waitcnt lgkmcnt(0)
	v_mad_u64_u32 v[0:1], null, v1, s1, v[3:4]
                                        ; implicit-def: $vgpr3_vgpr4
.LBB14_3:
	s_or_saveexec_b32 s2, s2
	v_mov_b32_e32 v1, 0
	v_mov_b32_e32 v2, 0
	s_xor_b32 exec_lo, exec_lo, s2
	s_cbranch_execz .LBB14_5
; %bb.4:
	s_waitcnt lgkmcnt(0)
	v_mad_u64_u32 v[3:4], null, v3, s1, v[3:4]
	v_mov_b32_e32 v2, 1.0
	v_mov_b32_e32 v0, v3
.LBB14_5:
	s_or_b32 exec_lo, exec_lo, s2
	s_clause 0x1
	s_load_dwordx2 s[2:3], s[4:5], 0x18
	s_load_dwordx2 s[4:5], s[4:5], 0x8
	v_lshlrev_b64 v[3:4], 3, v[0:1]
	s_waitcnt lgkmcnt(0)
	s_mul_i32 s1, s3, s8
	s_mul_hi_u32 s3, s2, s8
	s_mul_i32 s2, s2, s8
	s_add_i32 s3, s3, s1
	s_ashr_i32 s1, s0, 31
	s_lshl_b64 s[2:3], s[2:3], 3
	s_add_u32 s2, s4, s2
	s_addc_u32 s3, s5, s3
	s_lshl_b64 s[0:1], s[0:1], 3
	s_add_u32 s0, s2, s0
	s_addc_u32 s1, s3, s1
	v_add_co_u32 v5, vcc_lo, s0, v3
	v_add_co_ci_u32_e64 v6, null, s1, v4, vcc_lo
	v_mov_b32_e32 v3, v1
	global_store_dwordx2 v[5:6], v[2:3], off
.LBB14_6:
	s_endpgm
	.section	.rodata,"a",@progbits
	.p2align	6, 0x0
	.amdhsa_kernel _ZN9rocsolver6v33100L10init_identI19rocblas_complex_numIfEPS3_EEviiT0_iil
		.amdhsa_group_segment_fixed_size 0
		.amdhsa_private_segment_fixed_size 0
		.amdhsa_kernarg_size 288
		.amdhsa_user_sgpr_count 6
		.amdhsa_user_sgpr_private_segment_buffer 1
		.amdhsa_user_sgpr_dispatch_ptr 0
		.amdhsa_user_sgpr_queue_ptr 0
		.amdhsa_user_sgpr_kernarg_segment_ptr 1
		.amdhsa_user_sgpr_dispatch_id 0
		.amdhsa_user_sgpr_flat_scratch_init 0
		.amdhsa_user_sgpr_private_segment_size 0
		.amdhsa_wavefront_size32 1
		.amdhsa_uses_dynamic_stack 0
		.amdhsa_system_sgpr_private_segment_wavefront_offset 0
		.amdhsa_system_sgpr_workgroup_id_x 1
		.amdhsa_system_sgpr_workgroup_id_y 1
		.amdhsa_system_sgpr_workgroup_id_z 1
		.amdhsa_system_sgpr_workgroup_info 0
		.amdhsa_system_vgpr_workitem_id 1
		.amdhsa_next_free_vgpr 7
		.amdhsa_next_free_sgpr 9
		.amdhsa_reserve_vcc 1
		.amdhsa_reserve_flat_scratch 0
		.amdhsa_float_round_mode_32 0
		.amdhsa_float_round_mode_16_64 0
		.amdhsa_float_denorm_mode_32 3
		.amdhsa_float_denorm_mode_16_64 3
		.amdhsa_dx10_clamp 1
		.amdhsa_ieee_mode 1
		.amdhsa_fp16_overflow 0
		.amdhsa_workgroup_processor_mode 1
		.amdhsa_memory_ordered 1
		.amdhsa_forward_progress 1
		.amdhsa_shared_vgpr_count 0
		.amdhsa_exception_fp_ieee_invalid_op 0
		.amdhsa_exception_fp_denorm_src 0
		.amdhsa_exception_fp_ieee_div_zero 0
		.amdhsa_exception_fp_ieee_overflow 0
		.amdhsa_exception_fp_ieee_underflow 0
		.amdhsa_exception_fp_ieee_inexact 0
		.amdhsa_exception_int_div_zero 0
	.end_amdhsa_kernel
	.section	.text._ZN9rocsolver6v33100L10init_identI19rocblas_complex_numIfEPS3_EEviiT0_iil,"axG",@progbits,_ZN9rocsolver6v33100L10init_identI19rocblas_complex_numIfEPS3_EEviiT0_iil,comdat
.Lfunc_end14:
	.size	_ZN9rocsolver6v33100L10init_identI19rocblas_complex_numIfEPS3_EEviiT0_iil, .Lfunc_end14-_ZN9rocsolver6v33100L10init_identI19rocblas_complex_numIfEPS3_EEviiT0_iil
                                        ; -- End function
	.set _ZN9rocsolver6v33100L10init_identI19rocblas_complex_numIfEPS3_EEviiT0_iil.num_vgpr, 7
	.set _ZN9rocsolver6v33100L10init_identI19rocblas_complex_numIfEPS3_EEviiT0_iil.num_agpr, 0
	.set _ZN9rocsolver6v33100L10init_identI19rocblas_complex_numIfEPS3_EEviiT0_iil.numbered_sgpr, 9
	.set _ZN9rocsolver6v33100L10init_identI19rocblas_complex_numIfEPS3_EEviiT0_iil.num_named_barrier, 0
	.set _ZN9rocsolver6v33100L10init_identI19rocblas_complex_numIfEPS3_EEviiT0_iil.private_seg_size, 0
	.set _ZN9rocsolver6v33100L10init_identI19rocblas_complex_numIfEPS3_EEviiT0_iil.uses_vcc, 1
	.set _ZN9rocsolver6v33100L10init_identI19rocblas_complex_numIfEPS3_EEviiT0_iil.uses_flat_scratch, 0
	.set _ZN9rocsolver6v33100L10init_identI19rocblas_complex_numIfEPS3_EEviiT0_iil.has_dyn_sized_stack, 0
	.set _ZN9rocsolver6v33100L10init_identI19rocblas_complex_numIfEPS3_EEviiT0_iil.has_recursion, 0
	.set _ZN9rocsolver6v33100L10init_identI19rocblas_complex_numIfEPS3_EEviiT0_iil.has_indirect_call, 0
	.section	.AMDGPU.csdata,"",@progbits
; Kernel info:
; codeLenInByte = 268
; TotalNumSgprs: 11
; NumVgprs: 7
; ScratchSize: 0
; MemoryBound: 0
; FloatMode: 240
; IeeeMode: 1
; LDSByteSize: 0 bytes/workgroup (compile time only)
; SGPRBlocks: 0
; VGPRBlocks: 0
; NumSGPRsForWavesPerEU: 11
; NumVGPRsForWavesPerEU: 7
; Occupancy: 16
; WaveLimiterHint : 0
; COMPUTE_PGM_RSRC2:SCRATCH_EN: 0
; COMPUTE_PGM_RSRC2:USER_SGPR: 6
; COMPUTE_PGM_RSRC2:TRAP_HANDLER: 0
; COMPUTE_PGM_RSRC2:TGID_X_EN: 1
; COMPUTE_PGM_RSRC2:TGID_Y_EN: 1
; COMPUTE_PGM_RSRC2:TGID_Z_EN: 1
; COMPUTE_PGM_RSRC2:TIDIG_COMP_CNT: 1
	.section	.text._ZN9rocsolver6v33100L11lasr_kernelI19rocblas_complex_numIfEfPS3_iEEv13rocblas_side_14rocblas_pivot_15rocblas_direct_T2_S8_PT0_lSA_lT1_lS8_lS8_,"axG",@progbits,_ZN9rocsolver6v33100L11lasr_kernelI19rocblas_complex_numIfEfPS3_iEEv13rocblas_side_14rocblas_pivot_15rocblas_direct_T2_S8_PT0_lSA_lT1_lS8_lS8_,comdat
	.globl	_ZN9rocsolver6v33100L11lasr_kernelI19rocblas_complex_numIfEfPS3_iEEv13rocblas_side_14rocblas_pivot_15rocblas_direct_T2_S8_PT0_lSA_lT1_lS8_lS8_ ; -- Begin function _ZN9rocsolver6v33100L11lasr_kernelI19rocblas_complex_numIfEfPS3_iEEv13rocblas_side_14rocblas_pivot_15rocblas_direct_T2_S8_PT0_lSA_lT1_lS8_lS8_
	.p2align	8
	.type	_ZN9rocsolver6v33100L11lasr_kernelI19rocblas_complex_numIfEfPS3_iEEv13rocblas_side_14rocblas_pivot_15rocblas_direct_T2_S8_PT0_lSA_lT1_lS8_lS8_,@function
_ZN9rocsolver6v33100L11lasr_kernelI19rocblas_complex_numIfEfPS3_iEEv13rocblas_side_14rocblas_pivot_15rocblas_direct_T2_S8_PT0_lSA_lT1_lS8_lS8_: ; @_ZN9rocsolver6v33100L11lasr_kernelI19rocblas_complex_numIfEfPS3_iEEv13rocblas_side_14rocblas_pivot_15rocblas_direct_T2_S8_PT0_lSA_lT1_lS8_lS8_
; %bb.0:
	s_load_dword s33, s[4:5], 0x58
	s_waitcnt lgkmcnt(0)
	s_cmp_ge_u32 s7, s33
	s_cbranch_scc1 .LBB15_108
; %bb.1:
	s_clause 0x5
	s_load_dword s20, s[4:5], 0x48
	s_load_dwordx4 s[16:19], s[4:5], 0x38
	s_load_dwordx2 s[22:23], s[4:5], 0x68
	s_load_dwordx4 s[0:3], s[4:5], 0x0
	s_load_dword s56, s[4:5], 0x10
	s_load_dwordx8 s[8:15], s[4:5], 0x18
	v_mov_b32_e32 v36, 0
	s_waitcnt lgkmcnt(0)
	s_ashr_i32 s21, s20, 31
	s_lshl_b64 s[38:39], s[18:19], 3
	s_and_b32 s24, s23, 0xffff
	s_add_u32 s23, s16, s38
	s_addc_u32 s57, s17, s39
	s_cmpk_eq_i32 s0, 0x8d
	v_mad_u64_u32 v[0:1], null, s6, s24, v[0:1]
	s_cselect_b32 s25, -1, 0
	s_cmpk_eq_i32 s0, 0x8e
	s_cselect_b32 s26, -1, 0
	s_cmpk_eq_i32 s1, 0x119
	s_cselect_b32 s0, -1, 0
	s_cmpk_eq_i32 s1, 0x11b
	v_ashrrev_i32_e32 v1, 31, v0
	s_cselect_b32 s27, -1, 0
	s_cmpk_eq_i32 s1, 0x11a
	s_clause 0x1
	s_load_dwordx2 s[18:19], s[4:5], 0x50
	s_load_dword s1, s[4:5], 0x60
	s_cselect_b32 s28, -1, 0
	s_cmpk_eq_i32 s2, 0xab
	v_lshlrev_b64 v[1:2], 3, v[0:1]
	s_cselect_b32 s4, -1, 0
	s_cmpk_eq_i32 s2, 0xac
	s_cselect_b32 s2, -1, 0
	s_and_b32 s5, s25, s0
	s_and_b32 s6, s25, s28
	;; [unrolled: 1-line block ×6, first 2 shown]
	s_xor_b32 s58, s5, -1
	s_and_b32 s5, s25, s2
	s_and_b32 s34, s25, s4
	s_and_b32 s25, s0, s4
	s_and_b32 s0, s0, s2
	s_xor_b32 s62, s5, -1
	s_and_b32 s5, s26, s28
	s_xor_b32 s64, s0, -1
	v_cmp_gt_i32_e64 s0, s3, v0
	s_xor_b32 s63, s25, -1
	s_and_b32 s25, s5, s4
	s_and_b32 s30, s6, s4
	s_xor_b32 s65, s25, -1
	s_and_b32 s25, s26, s27
	s_and_b32 s31, s6, s2
	;; [unrolled: 1-line block ×5, first 2 shown]
	s_xor_b32 s6, s29, -1
	s_xor_b32 s59, s30, -1
	;; [unrolled: 1-line block ×6, first 2 shown]
	s_and_b32 s68, s25, s2
	s_add_i32 s69, s56, -1
	s_add_i32 s4, s56, -2
	s_cmp_gt_i32 s56, 1
	s_mov_b32 s5, 0
	s_cselect_b32 s70, -1, 0
	s_ashr_i32 s27, s3, 31
	s_add_i32 s40, s3, -2
	s_cmp_gt_i32 s3, 1
	s_waitcnt lgkmcnt(0)
	s_mul_i32 s24, s1, s24
	s_cselect_b32 s71, -1, 0
	s_lshl_b64 s[30:31], s[4:5], 2
	s_mul_i32 s1, s21, s4
	s_add_u32 s72, s8, s30
	s_addc_u32 s73, s9, s31
	s_lshl_b64 s[10:11], s[10:11], 2
	s_mul_hi_u32 s2, s20, s4
	s_add_u32 s74, s12, s30
	s_addc_u32 s75, s13, s31
	s_add_i32 s31, s2, s1
	s_mul_i32 s30, s20, s4
	s_lshl_b64 s[14:15], s[14:15], 2
	s_lshl_b64 s[30:31], s[30:31], 3
	s_mul_i32 s28, s20, s69
	s_add_u32 s1, s30, s38
	s_addc_u32 s2, s31, s39
	s_add_u32 s1, s16, s1
	s_addc_u32 s2, s17, s2
	v_add_co_u32 v14, vcc_lo, s1, v1
	s_ashr_i32 s25, s24, 31
	s_lshl_b64 s[34:35], s[20:21], 3
	v_add_co_ci_u32_e64 v15, null, s2, v2, vcc_lo
	s_lshl_b64 s[30:31], s[18:19], 3
	s_lshl_b64 s[36:37], s[24:25], 3
	s_mul_i32 s2, s21, s69
	s_mul_hi_u32 s4, s20, s69
	s_sub_u32 s25, 0, s34
	s_subb_u32 s21, 0, s35
	s_add_i32 s43, s4, s2
	s_mov_b32 s42, s28
	s_add_i32 s76, s56, 1
	s_lshl_b64 s[42:43], s[42:43], 3
	v_add_co_u32 v16, vcc_lo, v14, 4
	s_add_u32 s2, s42, s38
	s_addc_u32 s4, s43, s39
	v_add_co_ci_u32_e64 v17, null, 0, v15, vcc_lo
	v_add_co_u32 v3, vcc_lo, s23, v1
	s_add_u32 s2, s16, s2
	v_add_co_ci_u32_e64 v4, null, s57, v2, vcc_lo
	s_addc_u32 s4, s17, s4
	v_add_co_u32 v5, vcc_lo, s2, v1
	v_add_co_ci_u32_e64 v6, null, s4, v2, vcc_lo
	v_add_co_u32 v18, vcc_lo, v3, 4
	s_add_u32 s2, s38, s34
	s_addc_u32 s4, s39, s35
	v_add_co_ci_u32_e64 v19, null, 0, v4, vcc_lo
	v_add_co_u32 v20, vcc_lo, v5, 4
	s_add_u32 s2, s16, s2
	v_add_co_ci_u32_e64 v21, null, 0, v6, vcc_lo
	s_addc_u32 s4, s17, s4
	v_add_co_u32 v3, vcc_lo, s2, v1
	v_add_co_ci_u32_e64 v4, null, s4, v2, vcc_lo
	v_mad_i64_i32 v[1:2], null, s20, v0, 0
	s_mov_b32 s41, s5
	s_add_i32 s4, s3, -1
	s_lshl_b64 s[42:43], s[40:41], 2
	v_add_co_u32 v22, vcc_lo, v3, 4
	s_add_u32 s77, s8, s42
	v_lshlrev_b64 v[1:2], 3, v[1:2]
	s_addc_u32 s78, s9, s43
	v_add_co_ci_u32_e64 v23, null, 0, v4, vcc_lo
	s_add_u32 s79, s12, s42
	s_addc_u32 s80, s13, s43
	v_add_co_u32 v1, vcc_lo, v1, s38
	s_lshl_b64 s[40:41], s[40:41], 3
	v_add_co_ci_u32_e64 v2, null, s39, v2, vcc_lo
	s_add_u32 s2, s16, s40
	s_addc_u32 s26, s17, s41
	v_add_co_u32 v24, vcc_lo, s2, v1
	v_add_co_ci_u32_e64 v25, null, s26, v2, vcc_lo
	s_mul_hi_i32 s39, s20, s24
	s_mul_i32 s38, s20, s24
	v_add_co_u32 v26, vcc_lo, v24, 4
	s_lshl_b64 s[40:41], s[4:5], 3
	s_lshl_b64 s[38:39], s[38:39], 3
	s_add_i32 s5, s3, 1
	v_add_co_ci_u32_e64 v27, null, 0, v25, vcc_lo
	v_add_co_u32 v3, vcc_lo, s16, v1
	s_add_u32 s2, s16, s40
	v_add_co_ci_u32_e64 v4, null, s17, v2, vcc_lo
	s_addc_u32 s16, s17, s41
	v_add_co_u32 v1, vcc_lo, s2, v1
	v_add_co_ci_u32_e64 v2, null, s16, v2, vcc_lo
	v_add_co_u32 v28, vcc_lo, v3, 4
	v_add_co_ci_u32_e64 v29, null, 0, v4, vcc_lo
	v_add_co_u32 v30, vcc_lo, v1, 4
	v_add_co_ci_u32_e64 v31, null, 0, v2, vcc_lo
	v_add_co_u32 v32, vcc_lo, v3, 8
	v_add_co_ci_u32_e64 v33, null, 0, v4, vcc_lo
	v_add_co_u32 v34, vcc_lo, v3, 12
	v_cmp_gt_i32_e64 s1, s56, v0
	v_add_co_ci_u32_e64 v35, null, 0, v4, vcc_lo
	s_mul_hi_i32 s29, s20, s69
	s_mov_b32 s26, s3
	s_branch .LBB15_4
.LBB15_2:                               ;   in Loop: Header=BB15_4 Depth=1
	s_or_b32 exec_lo, exec_lo, s46
.LBB15_3:                               ;   in Loop: Header=BB15_4 Depth=1
	s_add_i32 s7, s7, s22
	s_cmp_ge_u32 s7, s33
	s_cbranch_scc1 .LBB15_108
.LBB15_4:                               ; =>This Loop Header: Depth=1
                                        ;     Child Loop BB15_19 Depth 2
                                        ;       Child Loop BB15_20 Depth 3
                                        ;     Child Loop BB15_26 Depth 2
                                        ;       Child Loop BB15_27 Depth 3
	;; [unrolled: 2-line block ×12, first 2 shown]
	s_mul_i32 s16, s15, s7
	s_mul_hi_u32 s17, s14, s7
	s_mul_i32 s2, s14, s7
	s_add_i32 s49, s17, s16
	s_mul_i32 s40, s11, s7
	s_mul_hi_u32 s41, s10, s7
	s_add_u32 s16, s12, s2
	s_mul_i32 s46, s10, s7
	s_addc_u32 s17, s13, s49
	s_add_i32 s47, s41, s40
	s_mul_i32 s42, s19, s7
	s_mul_hi_u32 s43, s18, s7
	s_add_u32 s40, s8, s46
	s_addc_u32 s41, s9, s47
	s_add_i32 s43, s43, s42
	s_mul_i32 s42, s18, s7
	s_mul_i32 s44, s31, s7
	s_mul_hi_u32 s83, s30, s7
	s_lshl_b64 s[42:43], s[42:43], 3
	s_add_i32 s83, s83, s44
	s_add_u32 s81, s23, s42
	s_mul_i32 s84, s30, s7
	s_addc_u32 s82, s57, s43
	s_and_b32 vcc_lo, exec_lo, s6
	s_mov_b32 s42, -1
	s_cbranch_vccnz .LBB15_6
; %bb.5:                                ;   in Loop: Header=BB15_4 Depth=1
	s_andn2_b32 vcc_lo, exec_lo, s42
	s_cbranch_vccnz .LBB15_3
	s_branch .LBB15_103
.LBB15_6:                               ;   in Loop: Header=BB15_4 Depth=1
	s_add_u32 s42, s77, s46
	s_addc_u32 s43, s78, s47
	s_add_u32 s44, s79, s2
	s_addc_u32 s45, s80, s49
	s_and_b32 vcc_lo, exec_lo, s58
	s_mov_b32 s48, -1
	s_cbranch_vccz .LBB15_95
; %bb.7:                                ;   in Loop: Header=BB15_4 Depth=1
	s_and_b32 vcc_lo, exec_lo, s59
	s_cbranch_vccz .LBB15_87
; %bb.8:                                ;   in Loop: Header=BB15_4 Depth=1
	s_and_b32 vcc_lo, exec_lo, s60
	;; [unrolled: 3-line block ×3, first 2 shown]
	s_cbranch_vccz .LBB15_71
; %bb.10:                               ;   in Loop: Header=BB15_4 Depth=1
	s_and_b32 vcc_lo, exec_lo, s62
	s_cbranch_vccz .LBB15_63
; %bb.11:                               ;   in Loop: Header=BB15_4 Depth=1
	v_add_co_u32 v1, vcc_lo, v18, s84
	v_add_co_ci_u32_e64 v2, null, s83, v19, vcc_lo
	s_and_b32 vcc_lo, exec_lo, s63
	s_cbranch_vccz .LBB15_55
; %bb.12:                               ;   in Loop: Header=BB15_4 Depth=1
	v_add_co_u32 v3, vcc_lo, v20, s84
	v_add_co_ci_u32_e64 v4, null, s83, v21, vcc_lo
	s_add_u32 s46, s72, s46
	s_addc_u32 s47, s73, s47
	s_add_u32 s48, s74, s2
	s_addc_u32 s49, s75, s49
	s_and_b32 vcc_lo, exec_lo, s64
	s_mov_b32 s2, -1
	s_cbranch_vccz .LBB15_46
; %bb.13:                               ;   in Loop: Header=BB15_4 Depth=1
	s_and_b32 vcc_lo, exec_lo, s65
	s_cbranch_vccz .LBB15_38
; %bb.14:                               ;   in Loop: Header=BB15_4 Depth=1
	s_and_b32 vcc_lo, exec_lo, s66
	;; [unrolled: 3-line block ×3, first 2 shown]
	s_cbranch_vccz .LBB15_22
; %bb.16:                               ;   in Loop: Header=BB15_4 Depth=1
	s_and_saveexec_b32 s54, s68
	s_cbranch_execz .LBB15_21
; %bb.17:                               ;   in Loop: Header=BB15_4 Depth=1
	v_add_co_u32 v5, vcc_lo, v16, s84
	v_add_co_ci_u32_e64 v6, null, s83, v17, vcc_lo
	s_lshl_b64 s[50:51], s[28:29], 3
	v_mov_b32_e32 v7, v0
	s_add_u32 s55, s81, s50
	s_addc_u32 s85, s82, s51
	s_mov_b32 s86, 0
	s_branch .LBB15_19
.LBB15_18:                              ;   in Loop: Header=BB15_19 Depth=2
	v_add_nc_u32_e32 v7, s24, v7
	v_add_co_u32 v5, s2, v5, s36
	v_add_co_ci_u32_e64 v6, null, s37, v6, s2
	v_cmp_le_i32_e32 vcc_lo, s3, v7
	s_waitcnt vmcnt(0)
	global_store_dwordx2 v[8:9], v[10:11], off
	s_or_b32 s86, vcc_lo, s86
	s_andn2_b32 exec_lo, exec_lo, s86
	s_cbranch_execz .LBB15_21
.LBB15_19:                              ;   Parent Loop BB15_4 Depth=1
                                        ; =>  This Loop Header: Depth=2
                                        ;       Child Loop BB15_20 Depth 3
	v_ashrrev_i32_e32 v8, 31, v7
	v_mov_b32_e32 v13, v6
	v_mov_b32_e32 v12, v5
	s_mov_b64 s[50:51], s[48:49]
	s_mov_b64 s[52:53], s[46:47]
	v_lshlrev_b64 v[8:9], 3, v[7:8]
	s_mov_b32 s2, s69
	v_add_co_u32 v8, vcc_lo, s55, v8
	v_add_co_ci_u32_e64 v9, null, s85, v9, vcc_lo
	s_andn2_b32 vcc_lo, exec_lo, s70
	global_load_dwordx2 v[10:11], v[8:9], off
	s_cbranch_vccnz .LBB15_18
	.p2align	6
.LBB15_20:                              ;   Parent Loop BB15_4 Depth=1
                                        ;     Parent Loop BB15_19 Depth=2
                                        ; =>    This Inner Loop Header: Depth=3
	global_load_dwordx2 v[37:38], v[12:13], off offset:-4
	s_clause 0x1
	global_load_dword v41, v36, s[52:53]
	global_load_dword v42, v36, s[50:51]
	s_add_i32 s2, s2, -1
	s_add_u32 s52, s52, -4
	s_addc_u32 s53, s53, -1
	s_add_u32 s50, s50, -4
	s_addc_u32 s51, s51, -1
	s_cmp_eq_u32 s2, 0
	s_waitcnt vmcnt(1)
	v_mul_f32_e32 v39, v41, v37
	v_mul_f32_e32 v40, v41, v38
	s_waitcnt vmcnt(0)
	v_mul_f32_e32 v37, v42, v37
	v_mul_f32_e32 v38, v42, v38
	v_fmac_f32_e32 v39, v10, v42
	v_fmac_f32_e32 v40, v11, v42
	v_fma_f32 v10, v10, v41, -v37
	v_fma_f32 v11, v11, v41, -v38
	global_store_dwordx2 v[12:13], v[39:40], off offset:-4
	v_add_co_u32 v12, vcc_lo, v12, s25
	v_add_co_ci_u32_e64 v13, null, s21, v13, vcc_lo
	s_cbranch_scc0 .LBB15_20
	s_branch .LBB15_18
.LBB15_21:                              ;   in Loop: Header=BB15_4 Depth=1
	s_or_b32 exec_lo, exec_lo, s54
	s_mov_b32 s2, 0
.LBB15_22:                              ;   in Loop: Header=BB15_4 Depth=1
	s_andn2_b32 vcc_lo, exec_lo, s2
	s_cbranch_vccnz .LBB15_29
; %bb.23:                               ;   in Loop: Header=BB15_4 Depth=1
	s_and_saveexec_b32 s54, s0
	s_cbranch_execz .LBB15_28
; %bb.24:                               ;   in Loop: Header=BB15_4 Depth=1
	v_mov_b32_e32 v6, v2
	s_lshl_b64 s[50:51], s[28:29], 3
	v_mov_b32_e32 v5, v1
	v_mov_b32_e32 v7, v0
	s_add_u32 s55, s81, s50
	s_addc_u32 s85, s82, s51
	s_mov_b32 s86, 0
	s_branch .LBB15_26
.LBB15_25:                              ;   in Loop: Header=BB15_26 Depth=2
	v_add_nc_u32_e32 v7, s24, v7
	v_add_co_u32 v5, s2, v5, s36
	v_add_co_ci_u32_e64 v6, null, s37, v6, s2
	v_cmp_le_i32_e32 vcc_lo, s3, v7
	s_waitcnt vmcnt(0)
	global_store_dwordx2 v[8:9], v[10:11], off
	s_or_b32 s86, vcc_lo, s86
	s_andn2_b32 exec_lo, exec_lo, s86
	s_cbranch_execz .LBB15_28
.LBB15_26:                              ;   Parent Loop BB15_4 Depth=1
                                        ; =>  This Loop Header: Depth=2
                                        ;       Child Loop BB15_27 Depth 3
	v_ashrrev_i32_e32 v8, 31, v7
	v_mov_b32_e32 v13, v6
	v_mov_b32_e32 v12, v5
	s_mov_b64 s[50:51], s[16:17]
	s_mov_b64 s[52:53], s[40:41]
	v_lshlrev_b64 v[8:9], 3, v[7:8]
	s_mov_b32 s2, s69
	v_add_co_u32 v8, vcc_lo, s55, v8
	v_add_co_ci_u32_e64 v9, null, s85, v9, vcc_lo
	s_andn2_b32 vcc_lo, exec_lo, s70
	global_load_dwordx2 v[10:11], v[8:9], off
	s_cbranch_vccnz .LBB15_25
	.p2align	6
.LBB15_27:                              ;   Parent Loop BB15_4 Depth=1
                                        ;     Parent Loop BB15_26 Depth=2
                                        ; =>    This Inner Loop Header: Depth=3
	global_load_dwordx2 v[37:38], v[12:13], off offset:-4
	s_clause 0x1
	global_load_dword v41, v36, s[52:53]
	global_load_dword v42, v36, s[50:51]
	s_add_i32 s2, s2, -1
	s_add_u32 s52, s52, 4
	s_addc_u32 s53, s53, 0
	s_add_u32 s50, s50, 4
	s_addc_u32 s51, s51, 0
	s_cmp_eq_u32 s2, 0
	s_waitcnt vmcnt(1)
	v_mul_f32_e32 v39, v41, v37
	v_mul_f32_e32 v40, v41, v38
	s_waitcnt vmcnt(0)
	v_mul_f32_e32 v37, v42, v37
	v_mul_f32_e32 v38, v42, v38
	v_fmac_f32_e32 v39, v10, v42
	v_fmac_f32_e32 v40, v11, v42
	v_fma_f32 v10, v10, v41, -v37
	v_fma_f32 v11, v11, v41, -v38
	global_store_dwordx2 v[12:13], v[39:40], off offset:-4
	v_add_co_u32 v12, vcc_lo, v12, s34
	v_add_co_ci_u32_e64 v13, null, s35, v13, vcc_lo
	s_cbranch_scc0 .LBB15_27
	s_branch .LBB15_25
.LBB15_28:                              ;   in Loop: Header=BB15_4 Depth=1
	s_or_b32 exec_lo, exec_lo, s54
.LBB15_29:                              ;   in Loop: Header=BB15_4 Depth=1
	s_mov_b32 s2, 0
.LBB15_30:                              ;   in Loop: Header=BB15_4 Depth=1
	s_andn2_b32 vcc_lo, exec_lo, s2
	s_cbranch_vccnz .LBB15_37
; %bb.31:                               ;   in Loop: Header=BB15_4 Depth=1
	s_and_saveexec_b32 s54, s0
	s_cbranch_execz .LBB15_36
; %bb.32:                               ;   in Loop: Header=BB15_4 Depth=1
	v_mov_b32_e32 v6, v4
	v_mov_b32_e32 v5, v3
	;; [unrolled: 1-line block ×3, first 2 shown]
	s_mov_b32 s55, 0
	s_branch .LBB15_34
.LBB15_33:                              ;   in Loop: Header=BB15_34 Depth=2
	v_add_nc_u32_e32 v7, s24, v7
	v_add_co_u32 v5, s2, v5, s36
	v_add_co_ci_u32_e64 v6, null, s37, v6, s2
	v_cmp_le_i32_e32 vcc_lo, s3, v7
	s_waitcnt vmcnt(0)
	global_store_dwordx2 v[8:9], v[10:11], off
	s_or_b32 s55, vcc_lo, s55
	s_andn2_b32 exec_lo, exec_lo, s55
	s_cbranch_execz .LBB15_36
.LBB15_34:                              ;   Parent Loop BB15_4 Depth=1
                                        ; =>  This Loop Header: Depth=2
                                        ;       Child Loop BB15_35 Depth 3
	v_ashrrev_i32_e32 v8, 31, v7
	v_mov_b32_e32 v13, v6
	v_mov_b32_e32 v12, v5
	s_mov_b64 s[50:51], s[48:49]
	s_mov_b64 s[52:53], s[46:47]
	v_lshlrev_b64 v[8:9], 3, v[7:8]
	s_mov_b32 s2, s76
	v_add_co_u32 v8, vcc_lo, s81, v8
	v_add_co_ci_u32_e64 v9, null, s82, v9, vcc_lo
	s_andn2_b32 vcc_lo, exec_lo, s70
	global_load_dwordx2 v[10:11], v[8:9], off
	s_cbranch_vccnz .LBB15_33
	.p2align	6
.LBB15_35:                              ;   Parent Loop BB15_4 Depth=1
                                        ;     Parent Loop BB15_34 Depth=2
                                        ; =>    This Inner Loop Header: Depth=3
	s_clause 0x1
	global_load_dword v39, v36, s[50:51]
	global_load_dword v40, v36, s[52:53]
	global_load_dwordx2 v[37:38], v[12:13], off offset:-4
	s_waitcnt vmcnt(3)
	v_mov_b32_e32 v41, v11
	v_mov_b32_e32 v42, v10
	s_add_i32 s2, s2, -1
	s_add_u32 s52, s52, -4
	s_addc_u32 s53, s53, -1
	s_add_u32 s50, s50, -4
	s_addc_u32 s51, s51, -1
	s_cmp_lt_u32 s2, 3
	s_waitcnt vmcnt(2)
	v_mul_f32_e32 v43, v42, v39
	v_mul_f32_e32 v44, v41, v39
	s_waitcnt vmcnt(0)
	v_mul_f32_e32 v10, v39, v37
	v_mul_f32_e32 v11, v39, v38
	v_fma_f32 v37, v40, v37, -v43
	v_fma_f32 v38, v40, v38, -v44
	v_fmac_f32_e32 v10, v42, v40
	v_fmac_f32_e32 v11, v41, v40
	global_store_dwordx2 v[12:13], v[37:38], off offset:-4
	v_add_co_u32 v12, vcc_lo, v12, s25
	v_add_co_ci_u32_e64 v13, null, s21, v13, vcc_lo
	s_cbranch_scc0 .LBB15_35
	s_branch .LBB15_33
.LBB15_36:                              ;   in Loop: Header=BB15_4 Depth=1
	s_or_b32 exec_lo, exec_lo, s54
.LBB15_37:                              ;   in Loop: Header=BB15_4 Depth=1
	s_mov_b32 s2, 0
.LBB15_38:                              ;   in Loop: Header=BB15_4 Depth=1
	s_andn2_b32 vcc_lo, exec_lo, s2
	s_cbranch_vccnz .LBB15_45
; %bb.39:                               ;   in Loop: Header=BB15_4 Depth=1
	s_and_saveexec_b32 s54, s0
	s_cbranch_execz .LBB15_44
; %bb.40:                               ;   in Loop: Header=BB15_4 Depth=1
	v_add_co_u32 v5, vcc_lo, v22, s84
	v_add_co_ci_u32_e64 v6, null, s83, v23, vcc_lo
	v_mov_b32_e32 v7, v0
	s_mov_b32 s55, 0
	s_branch .LBB15_42
.LBB15_41:                              ;   in Loop: Header=BB15_42 Depth=2
	v_add_nc_u32_e32 v7, s24, v7
	v_add_co_u32 v5, s2, v5, s36
	v_add_co_ci_u32_e64 v6, null, s37, v6, s2
	v_cmp_le_i32_e32 vcc_lo, s3, v7
	s_waitcnt vmcnt(0)
	global_store_dwordx2 v[8:9], v[10:11], off
	s_or_b32 s55, vcc_lo, s55
	s_andn2_b32 exec_lo, exec_lo, s55
	s_cbranch_execz .LBB15_44
.LBB15_42:                              ;   Parent Loop BB15_4 Depth=1
                                        ; =>  This Loop Header: Depth=2
                                        ;       Child Loop BB15_43 Depth 3
	v_ashrrev_i32_e32 v8, 31, v7
	v_mov_b32_e32 v13, v6
	v_mov_b32_e32 v12, v5
	s_mov_b32 s2, s69
	s_mov_b64 s[50:51], s[40:41]
	v_lshlrev_b64 v[8:9], 3, v[7:8]
	s_mov_b64 s[52:53], s[16:17]
	v_add_co_u32 v8, vcc_lo, s81, v8
	v_add_co_ci_u32_e64 v9, null, s82, v9, vcc_lo
	s_andn2_b32 vcc_lo, exec_lo, s70
	global_load_dwordx2 v[10:11], v[8:9], off
	s_cbranch_vccnz .LBB15_41
	.p2align	6
.LBB15_43:                              ;   Parent Loop BB15_4 Depth=1
                                        ;     Parent Loop BB15_42 Depth=2
                                        ; =>    This Inner Loop Header: Depth=3
	s_clause 0x1
	global_load_dword v39, v36, s[52:53]
	global_load_dword v40, v36, s[50:51]
	global_load_dwordx2 v[37:38], v[12:13], off offset:-4
	s_waitcnt vmcnt(3)
	v_mov_b32_e32 v41, v11
	v_mov_b32_e32 v42, v10
	s_add_u32 s52, s52, 4
	s_addc_u32 s53, s53, 0
	s_add_u32 s50, s50, 4
	s_addc_u32 s51, s51, 0
	s_add_i32 s2, s2, -1
	s_cmp_eq_u32 s2, 0
	s_waitcnt vmcnt(2)
	v_mul_f32_e32 v43, v42, v39
	v_mul_f32_e32 v44, v41, v39
	s_waitcnt vmcnt(0)
	v_mul_f32_e32 v10, v39, v37
	v_mul_f32_e32 v11, v39, v38
	v_fma_f32 v37, v40, v37, -v43
	v_fma_f32 v38, v40, v38, -v44
	v_fmac_f32_e32 v10, v42, v40
	v_fmac_f32_e32 v11, v41, v40
	global_store_dwordx2 v[12:13], v[37:38], off offset:-4
	v_add_co_u32 v12, vcc_lo, v12, s34
	v_add_co_ci_u32_e64 v13, null, s35, v13, vcc_lo
	s_cbranch_scc0 .LBB15_43
	s_branch .LBB15_41
.LBB15_44:                              ;   in Loop: Header=BB15_4 Depth=1
	s_or_b32 exec_lo, exec_lo, s54
.LBB15_45:                              ;   in Loop: Header=BB15_4 Depth=1
	s_mov_b32 s2, 0
.LBB15_46:                              ;   in Loop: Header=BB15_4 Depth=1
	s_andn2_b32 vcc_lo, exec_lo, s2
	s_cbranch_vccnz .LBB15_54
; %bb.47:                               ;   in Loop: Header=BB15_4 Depth=1
	s_and_saveexec_b32 s85, s0
	s_cbranch_execz .LBB15_53
; %bb.48:                               ;   in Loop: Header=BB15_4 Depth=1
	v_add_co_u32 v10, vcc_lo, v14, s84
	v_add_co_ci_u32_e64 v11, null, s83, v15, vcc_lo
	s_lshl_b64 s[50:51], s[28:29], 3
	v_mov_b32_e32 v5, v0
	s_add_u32 s86, s81, s50
	s_addc_u32 s87, s82, s51
	s_mov_b32 s88, 0
	s_branch .LBB15_50
.LBB15_49:                              ;   in Loop: Header=BB15_50 Depth=2
	s_inst_prefetch 0x2
	v_add_nc_u32_e32 v5, s24, v5
	v_add_co_u32 v6, vcc_lo, s81, v6
	v_add_co_ci_u32_e64 v7, null, s82, v7, vcc_lo
	v_add_co_u32 v10, vcc_lo, v10, s36
	v_add_co_ci_u32_e64 v11, null, s37, v11, vcc_lo
	v_cmp_le_i32_e32 vcc_lo, s3, v5
	v_add_co_u32 v3, s2, v3, s36
	v_add_co_ci_u32_e64 v4, null, s37, v4, s2
	s_or_b32 s88, vcc_lo, s88
	s_waitcnt vmcnt(0)
	global_store_dwordx2 v[6:7], v[8:9], off
	s_andn2_b32 exec_lo, exec_lo, s88
	s_cbranch_execz .LBB15_53
.LBB15_50:                              ;   Parent Loop BB15_4 Depth=1
                                        ; =>  This Loop Header: Depth=2
                                        ;       Child Loop BB15_52 Depth 3
	v_ashrrev_i32_e32 v6, 31, v5
	v_lshlrev_b64 v[6:7], 3, v[5:6]
	v_add_co_u32 v8, vcc_lo, s86, v6
	v_add_co_ci_u32_e64 v9, null, s87, v7, vcc_lo
	s_andn2_b32 vcc_lo, exec_lo, s70
	global_load_dwordx2 v[8:9], v[8:9], off
	s_cbranch_vccnz .LBB15_49
; %bb.51:                               ;   in Loop: Header=BB15_50 Depth=2
	s_mov_b64 s[50:51], 0
	s_mov_b64 s[52:53], s[48:49]
	;; [unrolled: 1-line block ×3, first 2 shown]
	s_mov_b32 s2, s69
	s_inst_prefetch 0x1
	.p2align	6
.LBB15_52:                              ;   Parent Loop BB15_4 Depth=1
                                        ;     Parent Loop BB15_50 Depth=2
                                        ; =>    This Inner Loop Header: Depth=3
	v_add_co_u32 v12, vcc_lo, v10, s50
	v_add_co_ci_u32_e64 v13, null, s51, v11, vcc_lo
	s_waitcnt vmcnt(0)
	v_mov_b32_e32 v41, v9
	s_clause 0x1
	global_load_dword v39, v36, s[54:55]
	global_load_dword v40, v36, s[52:53]
	global_load_dwordx2 v[12:13], v[12:13], off
	v_mov_b32_e32 v42, v8
	v_add_co_u32 v37, vcc_lo, v3, s50
	s_add_i32 s2, s2, -1
	s_sub_u32 s50, s50, s34
	v_add_co_ci_u32_e64 v38, null, s51, v4, vcc_lo
	s_subb_u32 s51, s51, s35
	s_add_u32 s54, s54, -4
	s_addc_u32 s55, s55, -1
	s_add_u32 s52, s52, -4
	s_addc_u32 s53, s53, -1
	s_cmp_eq_u32 s2, 0
	s_waitcnt vmcnt(0)
	v_mul_f32_e32 v43, v40, v12
	v_mul_f32_e32 v44, v40, v13
	;; [unrolled: 1-line block ×4, first 2 shown]
	v_fma_f32 v12, v42, v39, -v43
	v_fma_f32 v13, v41, v39, -v44
	v_fmac_f32_e32 v8, v42, v40
	v_fmac_f32_e32 v9, v41, v40
	global_store_dwordx2 v[37:38], v[12:13], off offset:-4
	s_cbranch_scc0 .LBB15_52
	s_branch .LBB15_49
.LBB15_53:                              ;   in Loop: Header=BB15_4 Depth=1
	s_or_b32 exec_lo, exec_lo, s85
.LBB15_54:                              ;   in Loop: Header=BB15_4 Depth=1
	s_mov_b32 s48, 0
.LBB15_55:                              ;   in Loop: Header=BB15_4 Depth=1
	s_andn2_b32 vcc_lo, exec_lo, s48
	s_cbranch_vccnz .LBB15_62
; %bb.56:                               ;   in Loop: Header=BB15_4 Depth=1
	s_and_saveexec_b32 s50, s0
	s_cbranch_execz .LBB15_61
; %bb.57:                               ;   in Loop: Header=BB15_4 Depth=1
	s_lshl_b64 s[46:47], s[28:29], 3
	v_mov_b32_e32 v3, v0
	s_add_u32 s51, s81, s46
	s_addc_u32 s52, s82, s47
	s_mov_b32 s53, 0
	s_branch .LBB15_59
.LBB15_58:                              ;   in Loop: Header=BB15_59 Depth=2
	v_add_nc_u32_e32 v3, s24, v3
	v_add_co_u32 v4, vcc_lo, s51, v4
	v_add_co_ci_u32_e64 v5, null, s52, v5, vcc_lo
	v_cmp_le_i32_e32 vcc_lo, s3, v3
	v_add_co_u32 v1, s2, v1, s36
	v_add_co_ci_u32_e64 v2, null, s37, v2, s2
	s_or_b32 s53, vcc_lo, s53
	s_waitcnt vmcnt(0)
	global_store_dwordx2 v[4:5], v[6:7], off
	s_andn2_b32 exec_lo, exec_lo, s53
	s_cbranch_execz .LBB15_61
.LBB15_59:                              ;   Parent Loop BB15_4 Depth=1
                                        ; =>  This Loop Header: Depth=2
                                        ;       Child Loop BB15_60 Depth 3
	v_ashrrev_i32_e32 v4, 31, v3
	v_mov_b32_e32 v9, v2
	v_mov_b32_e32 v8, v1
	s_mov_b64 s[46:47], s[16:17]
	s_mov_b64 s[48:49], s[40:41]
	v_lshlrev_b64 v[4:5], 3, v[3:4]
	s_mov_b32 s2, s69
	v_add_co_u32 v6, vcc_lo, s81, v4
	v_add_co_ci_u32_e64 v7, null, s82, v5, vcc_lo
	s_andn2_b32 vcc_lo, exec_lo, s70
	global_load_dwordx2 v[6:7], v[6:7], off
	s_cbranch_vccnz .LBB15_58
	.p2align	6
.LBB15_60:                              ;   Parent Loop BB15_4 Depth=1
                                        ;     Parent Loop BB15_59 Depth=2
                                        ; =>    This Inner Loop Header: Depth=3
	v_add_co_u32 v10, vcc_lo, v8, s34
	v_add_co_ci_u32_e64 v11, null, s35, v9, vcc_lo
	s_add_i32 s2, s2, -1
	global_load_dwordx2 v[12:13], v[10:11], off offset:-4
	s_clause 0x1
	global_load_dword v39, v36, s[46:47]
	global_load_dword v40, v36, s[48:49]
	s_add_u32 s48, s48, 4
	s_addc_u32 s49, s49, 0
	s_add_u32 s46, s46, 4
	s_addc_u32 s47, s47, 0
	s_cmp_eq_u32 s2, 0
	s_waitcnt vmcnt(1)
	v_mul_f32_e32 v37, v39, v12
	v_mul_f32_e32 v38, v39, v13
	;; [unrolled: 1-line block ×4, first 2 shown]
	s_waitcnt vmcnt(0)
	v_fmac_f32_e32 v37, v6, v40
	v_fmac_f32_e32 v38, v7, v40
	v_fma_f32 v6, v40, v12, -v41
	v_fma_f32 v7, v40, v13, -v39
	global_store_dwordx2 v[8:9], v[37:38], off offset:-4
	v_mov_b32_e32 v8, v10
	v_mov_b32_e32 v9, v11
	s_cbranch_scc0 .LBB15_60
	s_branch .LBB15_58
.LBB15_61:                              ;   in Loop: Header=BB15_4 Depth=1
	s_or_b32 exec_lo, exec_lo, s50
.LBB15_62:                              ;   in Loop: Header=BB15_4 Depth=1
	s_mov_b32 s48, 0
.LBB15_63:                              ;   in Loop: Header=BB15_4 Depth=1
	s_andn2_b32 vcc_lo, exec_lo, s48
	s_cbranch_vccnz .LBB15_70
; %bb.64:                               ;   in Loop: Header=BB15_4 Depth=1
	s_and_saveexec_b32 s50, s1
	s_cbranch_execz .LBB15_69
; %bb.65:                               ;   in Loop: Header=BB15_4 Depth=1
	v_add_co_u32 v1, vcc_lo, v26, s84
	v_add_co_ci_u32_e64 v2, null, s83, v27, vcc_lo
	s_lshl_b64 s[46:47], s[26:27], 3
	v_mov_b32_e32 v9, v0
	s_add_u32 s51, s81, s46
	s_addc_u32 s52, s82, s47
	s_mov_b32 s53, 0
	s_branch .LBB15_67
.LBB15_66:                              ;   in Loop: Header=BB15_67 Depth=2
	v_add_nc_u32_e32 v9, s24, v9
	v_add_co_u32 v1, s2, v1, s38
	v_add_co_ci_u32_e64 v2, null, s39, v2, s2
	v_cmp_le_i32_e32 vcc_lo, s56, v9
	s_waitcnt vmcnt(0)
	global_store_dwordx2 v[3:4], v[5:6], off offset:-8
	s_or_b32 s53, vcc_lo, s53
	s_andn2_b32 exec_lo, exec_lo, s53
	s_cbranch_execz .LBB15_69
.LBB15_67:                              ;   Parent Loop BB15_4 Depth=1
                                        ; =>  This Loop Header: Depth=2
                                        ;       Child Loop BB15_68 Depth 3
	v_mad_i64_i32 v[3:4], null, v9, s20, 0
	v_mov_b32_e32 v8, v2
	v_mov_b32_e32 v7, v1
	s_mov_b64 s[46:47], s[44:45]
	s_mov_b64 s[48:49], s[42:43]
	s_mov_b32 s2, s4
	v_lshlrev_b64 v[3:4], 3, v[3:4]
	v_add_co_u32 v3, vcc_lo, s51, v3
	v_add_co_ci_u32_e64 v4, null, s52, v4, vcc_lo
	s_andn2_b32 vcc_lo, exec_lo, s71
	global_load_dwordx2 v[5:6], v[3:4], off offset:-8
	s_cbranch_vccnz .LBB15_66
	.p2align	6
.LBB15_68:                              ;   Parent Loop BB15_4 Depth=1
                                        ;     Parent Loop BB15_67 Depth=2
                                        ; =>    This Inner Loop Header: Depth=3
	global_load_dwordx2 v[10:11], v[7:8], off offset:-4
	s_clause 0x1
	global_load_dword v37, v36, s[48:49]
	global_load_dword v38, v36, s[46:47]
	s_add_i32 s2, s2, -1
	s_add_u32 s48, s48, -4
	s_addc_u32 s49, s49, -1
	s_add_u32 s46, s46, -4
	s_addc_u32 s47, s47, -1
	s_cmp_eq_u32 s2, 0
	s_waitcnt vmcnt(1)
	v_mul_f32_e32 v12, v37, v10
	v_mul_f32_e32 v13, v37, v11
	s_waitcnt vmcnt(0)
	v_mul_f32_e32 v10, v38, v10
	v_mul_f32_e32 v11, v38, v11
	v_fmac_f32_e32 v12, v5, v38
	v_fmac_f32_e32 v13, v6, v38
	v_fma_f32 v5, v5, v37, -v10
	v_fma_f32 v6, v6, v37, -v11
	global_store_dwordx2 v[7:8], v[12:13], off offset:-4
	v_add_co_u32 v7, vcc_lo, v7, -8
	v_add_co_ci_u32_e64 v8, null, -1, v8, vcc_lo
	s_cbranch_scc0 .LBB15_68
	s_branch .LBB15_66
.LBB15_69:                              ;   in Loop: Header=BB15_4 Depth=1
	s_or_b32 exec_lo, exec_lo, s50
.LBB15_70:                              ;   in Loop: Header=BB15_4 Depth=1
	s_mov_b32 s48, 0
.LBB15_71:                              ;   in Loop: Header=BB15_4 Depth=1
	s_andn2_b32 vcc_lo, exec_lo, s48
	s_cbranch_vccnz .LBB15_78
; %bb.72:                               ;   in Loop: Header=BB15_4 Depth=1
	s_and_saveexec_b32 s50, s1
	s_cbranch_execz .LBB15_77
; %bb.73:                               ;   in Loop: Header=BB15_4 Depth=1
	v_add_co_u32 v1, vcc_lo, v28, s84
	v_add_co_ci_u32_e64 v2, null, s83, v29, vcc_lo
	s_lshl_b64 s[46:47], s[26:27], 3
	v_mov_b32_e32 v9, v0
	s_add_u32 s51, s81, s46
	s_addc_u32 s52, s82, s47
	s_mov_b32 s53, 0
	s_branch .LBB15_75
.LBB15_74:                              ;   in Loop: Header=BB15_75 Depth=2
	v_add_nc_u32_e32 v9, s24, v9
	v_add_co_u32 v1, s2, v1, s38
	v_add_co_ci_u32_e64 v2, null, s39, v2, s2
	v_cmp_le_i32_e32 vcc_lo, s56, v9
	s_waitcnt vmcnt(0)
	global_store_dwordx2 v[3:4], v[5:6], off offset:-8
	s_or_b32 s53, vcc_lo, s53
	s_andn2_b32 exec_lo, exec_lo, s53
	s_cbranch_execz .LBB15_77
.LBB15_75:                              ;   Parent Loop BB15_4 Depth=1
                                        ; =>  This Loop Header: Depth=2
                                        ;       Child Loop BB15_76 Depth 3
	v_mad_i64_i32 v[3:4], null, v9, s20, 0
	v_mov_b32_e32 v8, v2
	v_mov_b32_e32 v7, v1
	s_mov_b64 s[46:47], s[16:17]
	s_mov_b64 s[48:49], s[40:41]
	s_mov_b32 s2, s4
	v_lshlrev_b64 v[3:4], 3, v[3:4]
	v_add_co_u32 v3, vcc_lo, s51, v3
	v_add_co_ci_u32_e64 v4, null, s52, v4, vcc_lo
	s_andn2_b32 vcc_lo, exec_lo, s71
	global_load_dwordx2 v[5:6], v[3:4], off offset:-8
	s_cbranch_vccnz .LBB15_74
	.p2align	6
.LBB15_76:                              ;   Parent Loop BB15_4 Depth=1
                                        ;     Parent Loop BB15_75 Depth=2
                                        ; =>    This Inner Loop Header: Depth=3
	global_load_dwordx2 v[10:11], v[7:8], off offset:-4
	s_clause 0x1
	global_load_dword v37, v36, s[48:49]
	global_load_dword v38, v36, s[46:47]
	s_add_i32 s2, s2, -1
	s_add_u32 s48, s48, 4
	s_addc_u32 s49, s49, 0
	s_add_u32 s46, s46, 4
	s_addc_u32 s47, s47, 0
	s_cmp_eq_u32 s2, 0
	s_waitcnt vmcnt(1)
	v_mul_f32_e32 v12, v37, v10
	v_mul_f32_e32 v13, v37, v11
	s_waitcnt vmcnt(0)
	v_mul_f32_e32 v10, v38, v10
	v_mul_f32_e32 v11, v38, v11
	v_fmac_f32_e32 v12, v5, v38
	v_fmac_f32_e32 v13, v6, v38
	v_fma_f32 v5, v5, v37, -v10
	v_fma_f32 v6, v6, v37, -v11
	global_store_dwordx2 v[7:8], v[12:13], off offset:-4
	v_add_co_u32 v7, vcc_lo, v7, 8
	v_add_co_ci_u32_e64 v8, null, 0, v8, vcc_lo
	s_cbranch_scc0 .LBB15_76
	s_branch .LBB15_74
.LBB15_77:                              ;   in Loop: Header=BB15_4 Depth=1
	s_or_b32 exec_lo, exec_lo, s50
.LBB15_78:                              ;   in Loop: Header=BB15_4 Depth=1
	s_mov_b32 s48, 0
.LBB15_79:                              ;   in Loop: Header=BB15_4 Depth=1
	s_andn2_b32 vcc_lo, exec_lo, s48
	s_cbranch_vccnz .LBB15_86
; %bb.80:                               ;   in Loop: Header=BB15_4 Depth=1
	s_and_saveexec_b32 s50, s1
	s_cbranch_execz .LBB15_85
; %bb.81:                               ;   in Loop: Header=BB15_4 Depth=1
	v_add_co_u32 v1, vcc_lo, v30, s84
	v_add_co_ci_u32_e64 v2, null, s83, v31, vcc_lo
	v_mov_b32_e32 v9, v0
	s_mov_b32 s51, 0
	s_branch .LBB15_83
.LBB15_82:                              ;   in Loop: Header=BB15_83 Depth=2
	v_add_nc_u32_e32 v9, s24, v9
	v_add_co_u32 v1, s2, v1, s38
	v_add_co_ci_u32_e64 v2, null, s39, v2, s2
	v_cmp_le_i32_e32 vcc_lo, s56, v9
	s_waitcnt vmcnt(0)
	global_store_dwordx2 v[3:4], v[5:6], off
	s_or_b32 s51, vcc_lo, s51
	s_andn2_b32 exec_lo, exec_lo, s51
	s_cbranch_execz .LBB15_85
.LBB15_83:                              ;   Parent Loop BB15_4 Depth=1
                                        ; =>  This Loop Header: Depth=2
                                        ;       Child Loop BB15_84 Depth 3
	v_mad_i64_i32 v[3:4], null, v9, s20, 0
	v_mov_b32_e32 v8, v2
	v_mov_b32_e32 v7, v1
	s_mov_b64 s[46:47], s[44:45]
	s_mov_b64 s[48:49], s[42:43]
	s_mov_b32 s2, s5
	v_lshlrev_b64 v[3:4], 3, v[3:4]
	v_add_co_u32 v3, vcc_lo, s81, v3
	v_add_co_ci_u32_e64 v4, null, s82, v4, vcc_lo
	s_andn2_b32 vcc_lo, exec_lo, s71
	global_load_dwordx2 v[5:6], v[3:4], off
	s_cbranch_vccnz .LBB15_82
	.p2align	6
.LBB15_84:                              ;   Parent Loop BB15_4 Depth=1
                                        ;     Parent Loop BB15_83 Depth=2
                                        ; =>    This Inner Loop Header: Depth=3
	s_clause 0x1
	global_load_dword v12, v36, s[46:47]
	global_load_dword v13, v36, s[48:49]
	global_load_dwordx2 v[10:11], v[7:8], off offset:-4
	s_waitcnt vmcnt(3)
	v_mov_b32_e32 v37, v6
	v_mov_b32_e32 v38, v5
	s_add_i32 s2, s2, -1
	s_add_u32 s48, s48, -4
	s_addc_u32 s49, s49, -1
	s_add_u32 s46, s46, -4
	s_addc_u32 s47, s47, -1
	s_cmp_lt_u32 s2, 3
	s_waitcnt vmcnt(2)
	v_mul_f32_e32 v39, v38, v12
	v_mul_f32_e32 v40, v37, v12
	s_waitcnt vmcnt(0)
	v_mul_f32_e32 v5, v12, v10
	v_mul_f32_e32 v6, v12, v11
	v_fma_f32 v10, v13, v10, -v39
	v_fma_f32 v11, v13, v11, -v40
	v_fmac_f32_e32 v5, v38, v13
	v_fmac_f32_e32 v6, v37, v13
	global_store_dwordx2 v[7:8], v[10:11], off offset:-4
	v_add_co_u32 v7, vcc_lo, v7, -8
	v_add_co_ci_u32_e64 v8, null, -1, v8, vcc_lo
	s_cbranch_scc0 .LBB15_84
	s_branch .LBB15_82
.LBB15_85:                              ;   in Loop: Header=BB15_4 Depth=1
	s_or_b32 exec_lo, exec_lo, s50
.LBB15_86:                              ;   in Loop: Header=BB15_4 Depth=1
	s_mov_b32 s48, 0
.LBB15_87:                              ;   in Loop: Header=BB15_4 Depth=1
	s_andn2_b32 vcc_lo, exec_lo, s48
	s_cbranch_vccnz .LBB15_94
; %bb.88:                               ;   in Loop: Header=BB15_4 Depth=1
	s_and_saveexec_b32 s50, s1
	s_cbranch_execz .LBB15_93
; %bb.89:                               ;   in Loop: Header=BB15_4 Depth=1
	v_add_co_u32 v1, vcc_lo, v32, s84
	v_add_co_ci_u32_e64 v2, null, s83, v33, vcc_lo
	v_mov_b32_e32 v9, v0
	s_mov_b32 s51, 0
	s_branch .LBB15_91
.LBB15_90:                              ;   in Loop: Header=BB15_91 Depth=2
	v_add_nc_u32_e32 v9, s24, v9
	v_add_co_u32 v1, s2, v1, s38
	v_add_co_ci_u32_e64 v2, null, s39, v2, s2
	v_cmp_le_i32_e32 vcc_lo, s56, v9
	s_waitcnt vmcnt(0)
	global_store_dwordx2 v[3:4], v[5:6], off
	s_or_b32 s51, vcc_lo, s51
	s_andn2_b32 exec_lo, exec_lo, s51
	s_cbranch_execz .LBB15_93
.LBB15_91:                              ;   Parent Loop BB15_4 Depth=1
                                        ; =>  This Loop Header: Depth=2
                                        ;       Child Loop BB15_92 Depth 3
	v_mad_i64_i32 v[3:4], null, v9, s20, 0
	v_mov_b32_e32 v8, v2
	v_mov_b32_e32 v7, v1
	s_mov_b32 s2, s4
	s_mov_b64 s[46:47], s[40:41]
	s_mov_b64 s[48:49], s[16:17]
	v_lshlrev_b64 v[3:4], 3, v[3:4]
	v_add_co_u32 v3, vcc_lo, s81, v3
	v_add_co_ci_u32_e64 v4, null, s82, v4, vcc_lo
	s_andn2_b32 vcc_lo, exec_lo, s71
	global_load_dwordx2 v[5:6], v[3:4], off
	s_cbranch_vccnz .LBB15_90
	.p2align	6
.LBB15_92:                              ;   Parent Loop BB15_4 Depth=1
                                        ;     Parent Loop BB15_91 Depth=2
                                        ; =>    This Inner Loop Header: Depth=3
	s_clause 0x1
	global_load_dword v12, v36, s[48:49]
	global_load_dword v13, v36, s[46:47]
	global_load_dwordx2 v[10:11], v[7:8], off
	s_waitcnt vmcnt(3)
	v_mov_b32_e32 v37, v6
	v_mov_b32_e32 v38, v5
	s_add_u32 s48, s48, 4
	s_addc_u32 s49, s49, 0
	s_add_u32 s46, s46, 4
	s_addc_u32 s47, s47, 0
	s_add_i32 s2, s2, -1
	s_cmp_eq_u32 s2, 0
	s_waitcnt vmcnt(2)
	v_mul_f32_e32 v39, v38, v12
	v_mul_f32_e32 v40, v37, v12
	s_waitcnt vmcnt(0)
	v_mul_f32_e32 v5, v12, v10
	v_mul_f32_e32 v6, v12, v11
	v_fma_f32 v10, v13, v10, -v39
	v_fma_f32 v11, v13, v11, -v40
	v_fmac_f32_e32 v5, v38, v13
	v_fmac_f32_e32 v6, v37, v13
	global_store_dwordx2 v[7:8], v[10:11], off
	v_add_co_u32 v7, vcc_lo, v7, 8
	v_add_co_ci_u32_e64 v8, null, 0, v8, vcc_lo
	s_cbranch_scc0 .LBB15_92
	s_branch .LBB15_90
.LBB15_93:                              ;   in Loop: Header=BB15_4 Depth=1
	s_or_b32 exec_lo, exec_lo, s50
.LBB15_94:                              ;   in Loop: Header=BB15_4 Depth=1
	s_mov_b32 s48, 0
.LBB15_95:                              ;   in Loop: Header=BB15_4 Depth=1
	s_andn2_b32 vcc_lo, exec_lo, s48
	s_cbranch_vccnz .LBB15_102
; %bb.96:                               ;   in Loop: Header=BB15_4 Depth=1
	s_and_saveexec_b32 s50, s1
	s_cbranch_execz .LBB15_101
; %bb.97:                               ;   in Loop: Header=BB15_4 Depth=1
	v_add_co_u32 v1, vcc_lo, v24, s84
	v_add_co_ci_u32_e64 v2, null, s83, v25, vcc_lo
	s_lshl_b64 s[46:47], s[26:27], 3
	v_mov_b32_e32 v9, v0
	s_add_u32 s51, s81, s46
	s_addc_u32 s52, s82, s47
	s_mov_b32 s53, 0
	s_branch .LBB15_99
.LBB15_98:                              ;   in Loop: Header=BB15_99 Depth=2
	v_add_nc_u32_e32 v9, s24, v9
	v_add_co_u32 v3, vcc_lo, s81, v3
	v_add_co_ci_u32_e64 v4, null, s82, v4, vcc_lo
	v_cmp_le_i32_e32 vcc_lo, s56, v9
	v_add_co_u32 v1, s2, v1, s38
	v_add_co_ci_u32_e64 v2, null, s39, v2, s2
	s_or_b32 s53, vcc_lo, s53
	s_waitcnt vmcnt(0)
	global_store_dwordx2 v[3:4], v[5:6], off
	s_andn2_b32 exec_lo, exec_lo, s53
	s_cbranch_execz .LBB15_101
.LBB15_99:                              ;   Parent Loop BB15_4 Depth=1
                                        ; =>  This Loop Header: Depth=2
                                        ;       Child Loop BB15_100 Depth 3
	v_mad_i64_i32 v[3:4], null, v9, s20, 0
	v_mov_b32_e32 v8, v2
	v_mov_b32_e32 v7, v1
	s_mov_b64 s[46:47], s[44:45]
	s_mov_b64 s[48:49], s[42:43]
	s_mov_b32 s2, s4
	v_lshlrev_b64 v[3:4], 3, v[3:4]
	v_add_co_u32 v5, vcc_lo, s51, v3
	v_add_co_ci_u32_e64 v6, null, s52, v4, vcc_lo
	s_andn2_b32 vcc_lo, exec_lo, s71
	global_load_dwordx2 v[5:6], v[5:6], off offset:-8
	s_cbranch_vccnz .LBB15_98
	.p2align	6
.LBB15_100:                             ;   Parent Loop BB15_4 Depth=1
                                        ;     Parent Loop BB15_99 Depth=2
                                        ; =>    This Inner Loop Header: Depth=3
	global_load_dwordx2 v[10:11], v[7:8], off
	s_clause 0x1
	global_load_dword v12, v36, s[46:47]
	global_load_dword v13, v36, s[48:49]
	s_waitcnt vmcnt(3)
	v_mov_b32_e32 v37, v6
	v_mov_b32_e32 v38, v5
	s_add_i32 s2, s2, -1
	s_add_u32 s48, s48, -4
	s_addc_u32 s49, s49, -1
	s_add_u32 s46, s46, -4
	s_addc_u32 s47, s47, -1
	s_cmp_eq_u32 s2, 0
	s_waitcnt vmcnt(1)
	v_mul_f32_e32 v39, v12, v10
	v_mul_f32_e32 v40, v12, v11
	s_waitcnt vmcnt(0)
	v_mul_f32_e32 v5, v13, v10
	v_mul_f32_e32 v6, v13, v11
	v_fma_f32 v10, v38, v13, -v39
	v_fma_f32 v11, v37, v13, -v40
	v_fmac_f32_e32 v5, v38, v12
	v_fmac_f32_e32 v6, v37, v12
	global_store_dwordx2 v[7:8], v[10:11], off offset:8
	v_add_co_u32 v7, vcc_lo, v7, -8
	v_add_co_ci_u32_e64 v8, null, -1, v8, vcc_lo
	s_cbranch_scc0 .LBB15_100
	s_branch .LBB15_98
.LBB15_101:                             ;   in Loop: Header=BB15_4 Depth=1
	s_or_b32 exec_lo, exec_lo, s50
.LBB15_102:                             ;   in Loop: Header=BB15_4 Depth=1
	s_cbranch_execnz .LBB15_3
.LBB15_103:                             ;   in Loop: Header=BB15_4 Depth=1
	s_and_saveexec_b32 s46, s1
	s_cbranch_execz .LBB15_2
; %bb.104:                              ;   in Loop: Header=BB15_4 Depth=1
	v_add_co_u32 v1, vcc_lo, v34, s84
	v_add_co_ci_u32_e64 v2, null, s83, v35, vcc_lo
	s_lshl_b64 s[42:43], s[26:27], 3
	v_mov_b32_e32 v9, v0
	s_add_u32 s47, s81, s42
	s_addc_u32 s48, s82, s43
	s_mov_b32 s49, 0
	s_branch .LBB15_106
.LBB15_105:                             ;   in Loop: Header=BB15_106 Depth=2
	v_add_nc_u32_e32 v9, s24, v9
	v_add_co_u32 v3, vcc_lo, s47, v3
	v_add_co_ci_u32_e64 v4, null, s48, v4, vcc_lo
	v_cmp_le_i32_e32 vcc_lo, s56, v9
	v_add_co_u32 v1, s2, v1, s38
	v_add_co_ci_u32_e64 v2, null, s39, v2, s2
	s_or_b32 s49, vcc_lo, s49
	s_waitcnt vmcnt(0)
	global_store_dwordx2 v[3:4], v[5:6], off offset:-8
	s_andn2_b32 exec_lo, exec_lo, s49
	s_cbranch_execz .LBB15_2
.LBB15_106:                             ;   Parent Loop BB15_4 Depth=1
                                        ; =>  This Loop Header: Depth=2
                                        ;       Child Loop BB15_107 Depth 3
	v_mad_i64_i32 v[3:4], null, v9, s20, 0
	v_mov_b32_e32 v8, v2
	v_mov_b32_e32 v7, v1
	s_mov_b64 s[42:43], s[40:41]
	s_mov_b64 s[44:45], s[16:17]
	s_mov_b32 s2, s4
	v_lshlrev_b64 v[3:4], 3, v[3:4]
	v_add_co_u32 v5, vcc_lo, s81, v3
	v_add_co_ci_u32_e64 v6, null, s82, v4, vcc_lo
	s_andn2_b32 vcc_lo, exec_lo, s71
	global_load_dwordx2 v[5:6], v[5:6], off
	s_cbranch_vccnz .LBB15_105
	.p2align	6
.LBB15_107:                             ;   Parent Loop BB15_4 Depth=1
                                        ;     Parent Loop BB15_106 Depth=2
                                        ; =>    This Inner Loop Header: Depth=3
	global_load_dwordx2 v[10:11], v[7:8], off offset:-4
	s_clause 0x1
	global_load_dword v37, v36, s[44:45]
	global_load_dword v38, v36, s[42:43]
	s_add_i32 s2, s2, -1
	s_add_u32 s44, s44, 4
	s_addc_u32 s45, s45, 0
	s_add_u32 s42, s42, 4
	s_addc_u32 s43, s43, 0
	s_cmp_eq_u32 s2, 0
	s_waitcnt vmcnt(1)
	v_mul_f32_e32 v12, v37, v10
	v_mul_f32_e32 v13, v37, v11
	;; [unrolled: 1-line block ×4, first 2 shown]
	s_waitcnt vmcnt(0)
	v_fmac_f32_e32 v12, v5, v38
	v_fmac_f32_e32 v13, v6, v38
	v_fma_f32 v5, v38, v10, -v39
	v_fma_f32 v6, v38, v11, -v37
	global_store_dwordx2 v[7:8], v[12:13], off offset:-12
	v_add_co_u32 v7, vcc_lo, v7, 8
	v_add_co_ci_u32_e64 v8, null, 0, v8, vcc_lo
	s_cbranch_scc0 .LBB15_107
	s_branch .LBB15_105
.LBB15_108:
	s_endpgm
	.section	.rodata,"a",@progbits
	.p2align	6, 0x0
	.amdhsa_kernel _ZN9rocsolver6v33100L11lasr_kernelI19rocblas_complex_numIfEfPS3_iEEv13rocblas_side_14rocblas_pivot_15rocblas_direct_T2_S8_PT0_lSA_lT1_lS8_lS8_
		.amdhsa_group_segment_fixed_size 0
		.amdhsa_private_segment_fixed_size 0
		.amdhsa_kernarg_size 352
		.amdhsa_user_sgpr_count 6
		.amdhsa_user_sgpr_private_segment_buffer 1
		.amdhsa_user_sgpr_dispatch_ptr 0
		.amdhsa_user_sgpr_queue_ptr 0
		.amdhsa_user_sgpr_kernarg_segment_ptr 1
		.amdhsa_user_sgpr_dispatch_id 0
		.amdhsa_user_sgpr_flat_scratch_init 0
		.amdhsa_user_sgpr_private_segment_size 0
		.amdhsa_wavefront_size32 1
		.amdhsa_uses_dynamic_stack 0
		.amdhsa_system_sgpr_private_segment_wavefront_offset 0
		.amdhsa_system_sgpr_workgroup_id_x 1
		.amdhsa_system_sgpr_workgroup_id_y 0
		.amdhsa_system_sgpr_workgroup_id_z 1
		.amdhsa_system_sgpr_workgroup_info 0
		.amdhsa_system_vgpr_workitem_id 0
		.amdhsa_next_free_vgpr 45
		.amdhsa_next_free_sgpr 89
		.amdhsa_reserve_vcc 1
		.amdhsa_reserve_flat_scratch 0
		.amdhsa_float_round_mode_32 0
		.amdhsa_float_round_mode_16_64 0
		.amdhsa_float_denorm_mode_32 3
		.amdhsa_float_denorm_mode_16_64 3
		.amdhsa_dx10_clamp 1
		.amdhsa_ieee_mode 1
		.amdhsa_fp16_overflow 0
		.amdhsa_workgroup_processor_mode 1
		.amdhsa_memory_ordered 1
		.amdhsa_forward_progress 1
		.amdhsa_shared_vgpr_count 0
		.amdhsa_exception_fp_ieee_invalid_op 0
		.amdhsa_exception_fp_denorm_src 0
		.amdhsa_exception_fp_ieee_div_zero 0
		.amdhsa_exception_fp_ieee_overflow 0
		.amdhsa_exception_fp_ieee_underflow 0
		.amdhsa_exception_fp_ieee_inexact 0
		.amdhsa_exception_int_div_zero 0
	.end_amdhsa_kernel
	.section	.text._ZN9rocsolver6v33100L11lasr_kernelI19rocblas_complex_numIfEfPS3_iEEv13rocblas_side_14rocblas_pivot_15rocblas_direct_T2_S8_PT0_lSA_lT1_lS8_lS8_,"axG",@progbits,_ZN9rocsolver6v33100L11lasr_kernelI19rocblas_complex_numIfEfPS3_iEEv13rocblas_side_14rocblas_pivot_15rocblas_direct_T2_S8_PT0_lSA_lT1_lS8_lS8_,comdat
.Lfunc_end15:
	.size	_ZN9rocsolver6v33100L11lasr_kernelI19rocblas_complex_numIfEfPS3_iEEv13rocblas_side_14rocblas_pivot_15rocblas_direct_T2_S8_PT0_lSA_lT1_lS8_lS8_, .Lfunc_end15-_ZN9rocsolver6v33100L11lasr_kernelI19rocblas_complex_numIfEfPS3_iEEv13rocblas_side_14rocblas_pivot_15rocblas_direct_T2_S8_PT0_lSA_lT1_lS8_lS8_
                                        ; -- End function
	.set _ZN9rocsolver6v33100L11lasr_kernelI19rocblas_complex_numIfEfPS3_iEEv13rocblas_side_14rocblas_pivot_15rocblas_direct_T2_S8_PT0_lSA_lT1_lS8_lS8_.num_vgpr, 45
	.set _ZN9rocsolver6v33100L11lasr_kernelI19rocblas_complex_numIfEfPS3_iEEv13rocblas_side_14rocblas_pivot_15rocblas_direct_T2_S8_PT0_lSA_lT1_lS8_lS8_.num_agpr, 0
	.set _ZN9rocsolver6v33100L11lasr_kernelI19rocblas_complex_numIfEfPS3_iEEv13rocblas_side_14rocblas_pivot_15rocblas_direct_T2_S8_PT0_lSA_lT1_lS8_lS8_.numbered_sgpr, 89
	.set _ZN9rocsolver6v33100L11lasr_kernelI19rocblas_complex_numIfEfPS3_iEEv13rocblas_side_14rocblas_pivot_15rocblas_direct_T2_S8_PT0_lSA_lT1_lS8_lS8_.num_named_barrier, 0
	.set _ZN9rocsolver6v33100L11lasr_kernelI19rocblas_complex_numIfEfPS3_iEEv13rocblas_side_14rocblas_pivot_15rocblas_direct_T2_S8_PT0_lSA_lT1_lS8_lS8_.private_seg_size, 0
	.set _ZN9rocsolver6v33100L11lasr_kernelI19rocblas_complex_numIfEfPS3_iEEv13rocblas_side_14rocblas_pivot_15rocblas_direct_T2_S8_PT0_lSA_lT1_lS8_lS8_.uses_vcc, 1
	.set _ZN9rocsolver6v33100L11lasr_kernelI19rocblas_complex_numIfEfPS3_iEEv13rocblas_side_14rocblas_pivot_15rocblas_direct_T2_S8_PT0_lSA_lT1_lS8_lS8_.uses_flat_scratch, 0
	.set _ZN9rocsolver6v33100L11lasr_kernelI19rocblas_complex_numIfEfPS3_iEEv13rocblas_side_14rocblas_pivot_15rocblas_direct_T2_S8_PT0_lSA_lT1_lS8_lS8_.has_dyn_sized_stack, 0
	.set _ZN9rocsolver6v33100L11lasr_kernelI19rocblas_complex_numIfEfPS3_iEEv13rocblas_side_14rocblas_pivot_15rocblas_direct_T2_S8_PT0_lSA_lT1_lS8_lS8_.has_recursion, 0
	.set _ZN9rocsolver6v33100L11lasr_kernelI19rocblas_complex_numIfEfPS3_iEEv13rocblas_side_14rocblas_pivot_15rocblas_direct_T2_S8_PT0_lSA_lT1_lS8_lS8_.has_indirect_call, 0
	.section	.AMDGPU.csdata,"",@progbits
; Kernel info:
; codeLenInByte = 5256
; TotalNumSgprs: 91
; NumVgprs: 45
; ScratchSize: 0
; MemoryBound: 0
; FloatMode: 240
; IeeeMode: 1
; LDSByteSize: 0 bytes/workgroup (compile time only)
; SGPRBlocks: 0
; VGPRBlocks: 5
; NumSGPRsForWavesPerEU: 91
; NumVGPRsForWavesPerEU: 45
; Occupancy: 16
; WaveLimiterHint : 0
; COMPUTE_PGM_RSRC2:SCRATCH_EN: 0
; COMPUTE_PGM_RSRC2:USER_SGPR: 6
; COMPUTE_PGM_RSRC2:TRAP_HANDLER: 0
; COMPUTE_PGM_RSRC2:TGID_X_EN: 1
; COMPUTE_PGM_RSRC2:TGID_Y_EN: 0
; COMPUTE_PGM_RSRC2:TGID_Z_EN: 1
; COMPUTE_PGM_RSRC2:TIDIG_COMP_CNT: 0
	.section	.text._ZN9rocsolver6v33100L11swap_kernelI19rocblas_complex_numIfEiEEvT0_PT_S4_S6_S4_,"axG",@progbits,_ZN9rocsolver6v33100L11swap_kernelI19rocblas_complex_numIfEiEEvT0_PT_S4_S6_S4_,comdat
	.globl	_ZN9rocsolver6v33100L11swap_kernelI19rocblas_complex_numIfEiEEvT0_PT_S4_S6_S4_ ; -- Begin function _ZN9rocsolver6v33100L11swap_kernelI19rocblas_complex_numIfEiEEvT0_PT_S4_S6_S4_
	.p2align	8
	.type	_ZN9rocsolver6v33100L11swap_kernelI19rocblas_complex_numIfEiEEvT0_PT_S4_S6_S4_,@function
_ZN9rocsolver6v33100L11swap_kernelI19rocblas_complex_numIfEiEEvT0_PT_S4_S6_S4_: ; @_ZN9rocsolver6v33100L11swap_kernelI19rocblas_complex_numIfEiEEvT0_PT_S4_S6_S4_
; %bb.0:
	s_load_dword s12, s[4:5], 0x0
	s_waitcnt lgkmcnt(0)
	s_cmp_lt_i32 s12, 1
	s_cbranch_scc1 .LBB16_10
; %bb.1:
	s_clause 0x5
	s_load_dword s0, s[4:5], 0x34
	s_load_dword s1, s[4:5], 0x10
	;; [unrolled: 1-line block ×4, first 2 shown]
	s_load_dwordx2 s[2:3], s[4:5], 0x8
	s_load_dwordx2 s[4:5], s[4:5], 0x18
	s_waitcnt lgkmcnt(0)
	s_and_b32 s0, s0, 0xffff
	s_cmp_eq_u32 s1, 1
	v_mad_u64_u32 v[0:1], null, s6, s0, v[0:1]
	s_cselect_b32 s9, -1, 0
	s_cmp_eq_u32 s8, 1
	s_mul_i32 s6, s7, s0
	s_cselect_b32 s10, -1, 0
	s_and_b32 s7, s9, s10
	v_cmp_gt_i32_e64 s0, s12, v0
	s_and_b32 vcc_lo, exec_lo, s7
	s_mov_b32 s7, -1
	s_cbranch_vccnz .LBB16_6
; %bb.2:
	s_and_saveexec_b32 s7, s0
	s_cbranch_execz .LBB16_5
; %bb.3:
	v_mad_i64_i32 v[1:2], null, s8, v0, 0
	v_mad_i64_i32 v[3:4], null, s1, v0, 0
	v_mov_b32_e32 v5, v0
	s_mul_hi_i32 s9, s8, s6
	s_mul_i32 s8, s8, s6
	s_mul_hi_i32 s11, s1, s6
	v_lshlrev_b64 v[1:2], 3, v[1:2]
	s_mul_i32 s10, s1, s6
	v_lshlrev_b64 v[3:4], 3, v[3:4]
	s_lshl_b64 s[8:9], s[8:9], 3
	s_lshl_b64 s[10:11], s[10:11], 3
	s_mov_b32 s13, 0
	v_add_co_u32 v1, vcc_lo, s4, v1
	v_add_co_ci_u32_e64 v2, null, s5, v2, vcc_lo
	v_add_co_u32 v3, vcc_lo, s2, v3
	v_add_co_ci_u32_e64 v4, null, s3, v4, vcc_lo
	.p2align	6
.LBB16_4:                               ; =>This Inner Loop Header: Depth=1
	global_load_dwordx2 v[6:7], v[3:4], off
	global_load_dwordx2 v[8:9], v[1:2], off
	v_add_nc_u32_e32 v5, s6, v5
	s_waitcnt vmcnt(1)
	global_store_dwordx2 v[1:2], v[6:7], off
	s_waitcnt vmcnt(0)
	global_store_dwordx2 v[3:4], v[8:9], off
	v_add_co_u32 v1, s1, v1, s8
	v_cmp_le_i32_e32 vcc_lo, s12, v5
	v_add_co_ci_u32_e64 v2, null, s9, v2, s1
	v_add_co_u32 v3, s1, v3, s10
	v_add_co_ci_u32_e64 v4, null, s11, v4, s1
	s_or_b32 s13, vcc_lo, s13
	s_andn2_b32 exec_lo, exec_lo, s13
	s_cbranch_execnz .LBB16_4
.LBB16_5:
	s_or_b32 exec_lo, exec_lo, s7
	s_mov_b32 s7, 0
.LBB16_6:
	s_andn2_b32 vcc_lo, exec_lo, s7
	s_cbranch_vccnz .LBB16_10
; %bb.7:
	s_and_saveexec_b32 s1, s0
	s_cbranch_execz .LBB16_10
; %bb.8:
	v_ashrrev_i32_e32 v1, 31, v0
	s_ashr_i32 s7, s6, 31
	s_mov_b32 s1, 0
	s_lshl_b64 s[8:9], s[6:7], 3
	v_lshlrev_b64 v[1:2], 3, v[0:1]
	.p2align	6
.LBB16_9:                               ; =>This Inner Loop Header: Depth=1
	v_add_co_u32 v3, vcc_lo, s2, v1
	v_add_co_ci_u32_e64 v4, null, s3, v2, vcc_lo
	v_add_co_u32 v5, vcc_lo, s4, v1
	v_add_co_ci_u32_e64 v6, null, s5, v2, vcc_lo
	global_load_dwordx2 v[7:8], v[3:4], off
	global_load_dwordx2 v[9:10], v[5:6], off
	v_add_nc_u32_e32 v0, s6, v0
	v_add_co_u32 v1, s0, v1, s8
	v_add_co_ci_u32_e64 v2, null, s9, v2, s0
	v_cmp_le_i32_e32 vcc_lo, s12, v0
	s_waitcnt vmcnt(1)
	global_store_dwordx2 v[5:6], v[7:8], off
	s_waitcnt vmcnt(0)
	global_store_dwordx2 v[3:4], v[9:10], off
	s_or_b32 s1, vcc_lo, s1
	s_andn2_b32 exec_lo, exec_lo, s1
	s_cbranch_execnz .LBB16_9
.LBB16_10:
	s_endpgm
	.section	.rodata,"a",@progbits
	.p2align	6, 0x0
	.amdhsa_kernel _ZN9rocsolver6v33100L11swap_kernelI19rocblas_complex_numIfEiEEvT0_PT_S4_S6_S4_
		.amdhsa_group_segment_fixed_size 0
		.amdhsa_private_segment_fixed_size 0
		.amdhsa_kernarg_size 296
		.amdhsa_user_sgpr_count 6
		.amdhsa_user_sgpr_private_segment_buffer 1
		.amdhsa_user_sgpr_dispatch_ptr 0
		.amdhsa_user_sgpr_queue_ptr 0
		.amdhsa_user_sgpr_kernarg_segment_ptr 1
		.amdhsa_user_sgpr_dispatch_id 0
		.amdhsa_user_sgpr_flat_scratch_init 0
		.amdhsa_user_sgpr_private_segment_size 0
		.amdhsa_wavefront_size32 1
		.amdhsa_uses_dynamic_stack 0
		.amdhsa_system_sgpr_private_segment_wavefront_offset 0
		.amdhsa_system_sgpr_workgroup_id_x 1
		.amdhsa_system_sgpr_workgroup_id_y 0
		.amdhsa_system_sgpr_workgroup_id_z 0
		.amdhsa_system_sgpr_workgroup_info 0
		.amdhsa_system_vgpr_workitem_id 0
		.amdhsa_next_free_vgpr 11
		.amdhsa_next_free_sgpr 14
		.amdhsa_reserve_vcc 1
		.amdhsa_reserve_flat_scratch 0
		.amdhsa_float_round_mode_32 0
		.amdhsa_float_round_mode_16_64 0
		.amdhsa_float_denorm_mode_32 3
		.amdhsa_float_denorm_mode_16_64 3
		.amdhsa_dx10_clamp 1
		.amdhsa_ieee_mode 1
		.amdhsa_fp16_overflow 0
		.amdhsa_workgroup_processor_mode 1
		.amdhsa_memory_ordered 1
		.amdhsa_forward_progress 1
		.amdhsa_shared_vgpr_count 0
		.amdhsa_exception_fp_ieee_invalid_op 0
		.amdhsa_exception_fp_denorm_src 0
		.amdhsa_exception_fp_ieee_div_zero 0
		.amdhsa_exception_fp_ieee_overflow 0
		.amdhsa_exception_fp_ieee_underflow 0
		.amdhsa_exception_fp_ieee_inexact 0
		.amdhsa_exception_int_div_zero 0
	.end_amdhsa_kernel
	.section	.text._ZN9rocsolver6v33100L11swap_kernelI19rocblas_complex_numIfEiEEvT0_PT_S4_S6_S4_,"axG",@progbits,_ZN9rocsolver6v33100L11swap_kernelI19rocblas_complex_numIfEiEEvT0_PT_S4_S6_S4_,comdat
.Lfunc_end16:
	.size	_ZN9rocsolver6v33100L11swap_kernelI19rocblas_complex_numIfEiEEvT0_PT_S4_S6_S4_, .Lfunc_end16-_ZN9rocsolver6v33100L11swap_kernelI19rocblas_complex_numIfEiEEvT0_PT_S4_S6_S4_
                                        ; -- End function
	.set _ZN9rocsolver6v33100L11swap_kernelI19rocblas_complex_numIfEiEEvT0_PT_S4_S6_S4_.num_vgpr, 11
	.set _ZN9rocsolver6v33100L11swap_kernelI19rocblas_complex_numIfEiEEvT0_PT_S4_S6_S4_.num_agpr, 0
	.set _ZN9rocsolver6v33100L11swap_kernelI19rocblas_complex_numIfEiEEvT0_PT_S4_S6_S4_.numbered_sgpr, 14
	.set _ZN9rocsolver6v33100L11swap_kernelI19rocblas_complex_numIfEiEEvT0_PT_S4_S6_S4_.num_named_barrier, 0
	.set _ZN9rocsolver6v33100L11swap_kernelI19rocblas_complex_numIfEiEEvT0_PT_S4_S6_S4_.private_seg_size, 0
	.set _ZN9rocsolver6v33100L11swap_kernelI19rocblas_complex_numIfEiEEvT0_PT_S4_S6_S4_.uses_vcc, 1
	.set _ZN9rocsolver6v33100L11swap_kernelI19rocblas_complex_numIfEiEEvT0_PT_S4_S6_S4_.uses_flat_scratch, 0
	.set _ZN9rocsolver6v33100L11swap_kernelI19rocblas_complex_numIfEiEEvT0_PT_S4_S6_S4_.has_dyn_sized_stack, 0
	.set _ZN9rocsolver6v33100L11swap_kernelI19rocblas_complex_numIfEiEEvT0_PT_S4_S6_S4_.has_recursion, 0
	.set _ZN9rocsolver6v33100L11swap_kernelI19rocblas_complex_numIfEiEEvT0_PT_S4_S6_S4_.has_indirect_call, 0
	.section	.AMDGPU.csdata,"",@progbits
; Kernel info:
; codeLenInByte = 560
; TotalNumSgprs: 16
; NumVgprs: 11
; ScratchSize: 0
; MemoryBound: 0
; FloatMode: 240
; IeeeMode: 1
; LDSByteSize: 0 bytes/workgroup (compile time only)
; SGPRBlocks: 0
; VGPRBlocks: 1
; NumSGPRsForWavesPerEU: 16
; NumVGPRsForWavesPerEU: 11
; Occupancy: 16
; WaveLimiterHint : 0
; COMPUTE_PGM_RSRC2:SCRATCH_EN: 0
; COMPUTE_PGM_RSRC2:USER_SGPR: 6
; COMPUTE_PGM_RSRC2:TRAP_HANDLER: 0
; COMPUTE_PGM_RSRC2:TGID_X_EN: 1
; COMPUTE_PGM_RSRC2:TGID_Y_EN: 0
; COMPUTE_PGM_RSRC2:TGID_Z_EN: 0
; COMPUTE_PGM_RSRC2:TIDIG_COMP_CNT: 0
	.section	.text._ZN9rocsolver6v33100L12steqr_kernelI19rocblas_complex_numIfEfPS3_EEviPT0_lS6_lT1_iilPiS6_iS5_S5_S5_,"axG",@progbits,_ZN9rocsolver6v33100L12steqr_kernelI19rocblas_complex_numIfEfPS3_EEviPT0_lS6_lT1_iilPiS6_iS5_S5_S5_,comdat
	.globl	_ZN9rocsolver6v33100L12steqr_kernelI19rocblas_complex_numIfEfPS3_EEviPT0_lS6_lT1_iilPiS6_iS5_S5_S5_ ; -- Begin function _ZN9rocsolver6v33100L12steqr_kernelI19rocblas_complex_numIfEfPS3_EEviPT0_lS6_lT1_iilPiS6_iS5_S5_S5_
	.p2align	8
	.type	_ZN9rocsolver6v33100L12steqr_kernelI19rocblas_complex_numIfEfPS3_EEviPT0_lS6_lT1_iilPiS6_iS5_S5_S5_,@function
_ZN9rocsolver6v33100L12steqr_kernelI19rocblas_complex_numIfEfPS3_EEviPT0_lS6_lT1_iilPiS6_iS5_S5_S5_: ; @_ZN9rocsolver6v33100L12steqr_kernelI19rocblas_complex_numIfEfPS3_EEviPT0_lS6_lT1_iilPiS6_iS5_S5_S5_
; %bb.0:
	s_clause 0x1
	s_load_dword s0, s[4:5], 0x6c
	s_load_dword s1, s[4:5], 0x60
	s_mov_b32 s28, s7
	s_waitcnt lgkmcnt(0)
	s_and_b32 s7, s0, 0xffff
	v_mad_u64_u32 v[0:1], null, s6, s7, v[0:1]
	v_cmp_eq_u32_e64 s0, 0, v0
	s_and_saveexec_b32 s2, s0
; %bb.1:
	v_mov_b32_e32 v1, 0
	ds_write2_b32 v1, v1, v1 offset0:3 offset1:7
; %bb.2:
	s_or_b32 exec_lo, exec_lo, s2
	s_load_dwordx8 s[16:23], s[4:5], 0x8
	v_mov_b32_e32 v36, 0
	s_load_dword s6, s[4:5], 0x0
	s_waitcnt lgkmcnt(0)
	s_barrier
	buffer_gl0_inv
	ds_read2_b32 v[1:2], v36 offset0:3 offset1:7
	s_clause 0x2
	s_load_dwordx4 s[24:27], s[4:5], 0x50
	s_load_dwordx8 s[8:15], s[4:5], 0x28
	s_load_dwordx2 s[2:3], s[4:5], 0x48
	s_ashr_i32 s29, s28, 31
	s_mul_i32 s30, s1, s7
	s_mul_hi_u32 s1, s18, s28
	s_mul_i32 s5, s18, s29
	s_mul_i32 s7, s19, s28
	s_add_i32 s1, s1, s5
	s_mul_i32 s4, s18, s28
	s_add_i32 s5, s1, s7
	s_mul_hi_u32 s31, s22, s28
	s_mul_i32 s33, s22, s29
	s_mul_i32 s34, s23, s28
	s_mul_i32 s38, s22, s28
	s_lshl_b64 s[22:23], s[4:5], 2
	s_waitcnt lgkmcnt(0)
	v_cmp_gt_i32_e32 vcc_lo, s6, v1
	v_cmp_gt_i32_e64 s1, s24, v2
	s_add_u32 s18, s16, s22
	s_addc_u32 s19, s17, s23
	s_add_i32 s5, s31, s33
	s_mul_hi_u32 s4, s12, s28
	s_add_i32 s39, s5, s34
	s_mul_i32 s5, s12, s29
	v_readfirstlane_b32 s58, v1
	s_and_b32 s1, vcc_lo, s1
	s_add_i32 s4, s4, s5
	s_mul_i32 s5, s13, s28
	s_ashr_i32 s35, s10, 31
	s_mov_b32 s34, s10
	s_add_i32 s13, s4, s5
	s_mul_i32 s12, s12, s28
	s_andn2_b32 vcc_lo, exec_lo, s1
	s_add_i32 s36, s6, -1
	s_cbranch_vccnz .LBB17_223
; %bb.3:
	s_lshl_b64 s[4:5], s[38:39], 2
	s_lshl_b32 s1, s6, 1
	s_add_u32 s10, s20, s4
	s_addc_u32 s33, s21, s5
	s_lshl_b64 s[4:5], s[12:13], 3
	s_mul_hi_i32 s41, s1, s28
	s_add_u32 s7, s8, s4
	s_addc_u32 s31, s9, s5
	s_lshl_b64 s[52:53], s[34:35], 3
	s_mul_i32 s40, s1, s28
	s_add_u32 s68, s7, s52
	s_addc_u32 s69, s31, s53
	s_lshl_b64 s[46:47], s[40:41], 2
	v_ashrrev_i32_e32 v1, 31, v0
	s_add_u32 s70, s2, s46
	s_addc_u32 s71, s3, s47
	s_ashr_i32 s7, s6, 31
	s_ashr_i32 s41, s11, 31
	s_add_u32 s72, s16, s22
	s_addc_u32 s73, s17, s23
	s_add_u32 s74, s72, 4
	s_addc_u32 s75, s73, 0
	s_ashr_i32 s31, s30, 31
	s_lshl_b64 s[42:43], s[6:7], 2
	s_lshl_b64 s[44:45], s[30:31], 2
	s_add_u32 s7, s46, s42
	s_addc_u32 s37, s47, s43
	s_add_u32 s2, s2, s7
	s_addc_u32 s3, s3, s37
	s_add_u32 s46, s2, -8
	s_addc_u32 s47, s3, -1
	s_add_u32 s48, s70, -4
	s_addc_u32 s49, s71, -1
	s_add_u32 s50, s10, -4
	s_addc_u32 s51, s33, -1
	s_add_u32 s7, s42, -4
	v_lshlrev_b64 v[1:2], 3, v[0:1]
	s_addc_u32 s76, s43, -1
	s_add_u32 s2, s4, s52
	s_addc_u32 s3, s5, s53
	s_add_u32 s2, s8, s2
	s_addc_u32 s3, s9, s3
	v_add_co_u32 v1, vcc_lo, s2, v1
	v_add_co_ci_u32_e64 v2, null, s3, v2, vcc_lo
	s_mov_b32 s40, s11
	v_add_co_u32 v38, vcc_lo, v1, 4
	s_lshl_b64 s[52:53], s[40:41], 3
	s_lshl_b64 s[54:55], s[30:31], 3
	v_mul_f32_e64 v37, s25, s25
	v_cmp_gt_i32_e64 s1, s6, v0
	v_add_co_ci_u32_e64 v39, null, 0, v2, vcc_lo
	s_sub_u32 s31, 0, s52
	s_subb_u32 s77, 0, s53
	s_add_u32 s78, s72, -4
	s_mov_b32 s56, 0x667f3bcd
	s_addc_u32 s79, s73, -1
	s_mov_b32 s5, 0
	s_mov_b32 s57, 0x3ff6a09e
                                        ; implicit-def: $vgpr42
                                        ; implicit-def: $vgpr9_vgpr10
                                        ; implicit-def: $vgpr11_vgpr12
                                        ; implicit-def: $vgpr13_vgpr14
                                        ; implicit-def: $vgpr1_vgpr2
                                        ; implicit-def: $vgpr41
                                        ; implicit-def: $vgpr7_vgpr8
                                        ; implicit-def: $vgpr40
                                        ; implicit-def: $vgpr3_vgpr4
                                        ; implicit-def: $vgpr5_vgpr6
	s_branch .LBB17_7
.LBB17_4:                               ;   in Loop: Header=BB17_7 Depth=1
	s_or_b32 exec_lo, exec_lo, s3
.LBB17_5:                               ;   in Loop: Header=BB17_7 Depth=1
	s_waitcnt_vscnt null, 0x0
	s_barrier
	buffer_gl0_inv
.LBB17_6:                               ;   in Loop: Header=BB17_7 Depth=1
	ds_read2_b32 v[15:16], v36 offset0:3 offset1:7
	s_waitcnt lgkmcnt(0)
	v_cmp_gt_i32_e32 vcc_lo, s6, v15
	v_cmp_gt_i32_e64 s2, s24, v16
	v_readfirstlane_b32 s58, v15
	s_and_b32 s2, vcc_lo, s2
	s_andn2_b32 vcc_lo, exec_lo, s2
	s_cbranch_vccnz .LBB17_223
.LBB17_7:                               ; =>This Loop Header: Depth=1
                                        ;     Child Loop BB17_15 Depth 2
                                        ;     Child Loop BB17_28 Depth 2
	;; [unrolled: 1-line block ×5, first 2 shown]
                                        ;       Child Loop BB17_153 Depth 3
                                        ;       Child Loop BB17_173 Depth 3
	;; [unrolled: 1-line block ×3, first 2 shown]
                                        ;         Child Loop BB17_221 Depth 4
                                        ;     Child Loop BB17_68 Depth 2
                                        ;       Child Loop BB17_75 Depth 3
                                        ;       Child Loop BB17_95 Depth 3
	;; [unrolled: 1-line block ×3, first 2 shown]
                                        ;         Child Loop BB17_143 Depth 4
                                        ;     Child Loop BB17_58 Depth 2
                                        ;     Child Loop BB17_65 Depth 2
	s_and_saveexec_b32 s4, s0
	s_cbranch_execz .LBB17_31
; %bb.8:                                ;   in Loop: Header=BB17_7 Depth=1
	s_cmp_lt_i32 s58, 1
	s_cbranch_scc1 .LBB17_10
; %bb.9:                                ;   in Loop: Header=BB17_7 Depth=1
	s_mov_b32 s59, s5
	s_lshl_b64 s[2:3], s[58:59], 2
	s_add_u32 s2, s10, s2
	s_addc_u32 s3, s33, s3
	global_store_dword v36, v36, s[2:3] offset:-4
.LBB17_10:                              ;   in Loop: Header=BB17_7 Depth=1
	s_mov_b32 s2, -1
	s_mov_b32 s64, 0
	s_cmp_lt_i32 s58, s36
	s_mov_b32 s80, 0
	s_cbranch_scc1 .LBB17_12
; %bb.11:                               ;   in Loop: Header=BB17_7 Depth=1
	s_ashr_i32 s59, s58, 31
	s_mov_b32 s2, 0
	s_mov_b32 s80, -1
.LBB17_12:                              ;   in Loop: Header=BB17_7 Depth=1
	s_andn2_b32 vcc_lo, exec_lo, s2
	s_cbranch_vccnz .LBB17_17
; %bb.13:                               ;   in Loop: Header=BB17_7 Depth=1
	s_ashr_i32 s59, s58, 31
	s_lshl_b64 s[2:3], s[58:59], 2
	s_mov_b64 s[64:65], s[58:59]
	s_add_u32 s66, s10, s2
	s_addc_u32 s67, s33, s3
	s_add_u32 s62, s74, s2
	s_addc_u32 s63, s75, s3
	s_branch .LBB17_15
.LBB17_14:                              ;   in Loop: Header=BB17_15 Depth=2
	s_andn2_b32 vcc_lo, exec_lo, s81
	s_cbranch_vccz .LBB17_18
.LBB17_15:                              ;   Parent Loop BB17_7 Depth=1
                                        ; =>  This Inner Loop Header: Depth=2
	s_clause 0x1
	global_load_dwordx2 v[9:10], v36, s[62:63] offset:-4
	global_load_dword v11, v36, s[66:67]
	s_mov_b64 s[60:61], s[66:67]
	s_mov_b32 s37, -1
	s_mov_b32 s81, -1
	s_waitcnt vmcnt(1)
	v_mul_f32_e64 v12, 0x4f800000, |v9|
	v_cmp_gt_f32_e64 vcc_lo, 0xf800000, |v9|
	v_mul_f32_e64 v13, 0x4f800000, |v10|
	v_cmp_gt_f32_e64 s2, 0xf800000, |v10|
	v_cndmask_b32_e64 v9, |v9|, v12, vcc_lo
	v_cndmask_b32_e64 v10, |v10|, v13, s2
	v_sqrt_f32_e32 v12, v9
	v_sqrt_f32_e32 v13, v10
	v_add_nc_u32_e32 v14, -1, v12
	v_add_nc_u32_e32 v16, 1, v12
	v_add_nc_u32_e32 v15, -1, v13
	v_add_nc_u32_e32 v17, 1, v13
	v_fma_f32 v18, -v14, v12, v9
	v_fma_f32 v20, -v16, v12, v9
	v_fma_f32 v19, -v15, v13, v10
	v_fma_f32 v21, -v17, v13, v10
	v_cmp_ge_f32_e64 s3, 0, v18
	v_cndmask_b32_e64 v12, v12, v14, s3
	v_cmp_ge_f32_e64 s3, 0, v19
	v_cndmask_b32_e64 v13, v13, v15, s3
	v_cmp_lt_f32_e64 s3, 0, v20
	v_cndmask_b32_e64 v12, v12, v16, s3
	v_cmp_lt_f32_e64 s3, 0, v21
	v_mul_f32_e32 v14, 0x37800000, v12
	v_cndmask_b32_e64 v13, v13, v17, s3
	v_cndmask_b32_e32 v12, v12, v14, vcc_lo
	v_mul_f32_e32 v15, 0x37800000, v13
	v_cmp_class_f32_e64 vcc_lo, v9, 0x260
	v_cndmask_b32_e64 v13, v13, v15, s2
	v_cndmask_b32_e32 v9, v12, v9, vcc_lo
	v_cmp_class_f32_e64 vcc_lo, v10, 0x260
	s_mov_b64 s[2:3], s[64:65]
                                        ; implicit-def: $sgpr64_sgpr65
	v_cndmask_b32_e32 v10, v13, v10, vcc_lo
	v_mul_f32_e32 v9, v9, v10
	v_mul_f32_e32 v9, s25, v9
	s_waitcnt vmcnt(0)
	v_cmp_nle_f32_e64 s66, |v11|, v9
	s_and_b32 vcc_lo, exec_lo, s66
                                        ; implicit-def: $sgpr66_sgpr67
	s_cbranch_vccz .LBB17_14
; %bb.16:                               ;   in Loop: Header=BB17_15 Depth=2
	s_add_u32 s64, s2, 1
	s_addc_u32 s65, s3, 0
	s_add_u32 s66, s60, 4
	s_addc_u32 s67, s61, 0
	;; [unrolled: 2-line block ×3, first 2 shown]
	s_cmp_ge_i32 s64, s36
	s_mov_b32 s37, 0
	s_cselect_b32 s81, -1, 0
	s_branch .LBB17_14
.LBB17_17:                              ;   in Loop: Header=BB17_7 Depth=1
	s_mov_b32 s2, s58
	s_mov_b64 s[62:63], s[58:59]
	s_and_b32 vcc_lo, exec_lo, s80
	s_cbranch_vccnz .LBB17_21
	s_branch .LBB17_22
.LBB17_18:                              ;   in Loop: Header=BB17_7 Depth=1
	s_xor_b32 s37, s37, -1
	s_mov_b32 s64, -1
	s_and_b32 vcc_lo, exec_lo, s37
                                        ; implicit-def: $sgpr62_sgpr63
	s_cbranch_vccz .LBB17_20
; %bb.19:                               ;   in Loop: Header=BB17_7 Depth=1
	s_ashr_i32 s37, s36, 31
	s_mov_b32 s80, -1
	s_mov_b32 s64, 0
	s_mov_b64 s[62:63], s[36:37]
.LBB17_20:                              ;   in Loop: Header=BB17_7 Depth=1
	v_mov_b32_e32 v10, s3
	v_mov_b32_e32 v11, s60
	;; [unrolled: 1-line block ×7, first 2 shown]
	s_mov_b32 s2, s36
	s_and_b32 vcc_lo, exec_lo, s80
	s_cbranch_vccz .LBB17_22
.LBB17_21:                              ;   in Loop: Header=BB17_7 Depth=1
	v_mov_b32_e32 v15, s2
	ds_write_b32 v36, v15 offset:4
.LBB17_22:                              ;   in Loop: Header=BB17_7 Depth=1
	v_mov_b32_e32 v15, s58
	v_mov_b32_e32 v17, s62
	;; [unrolled: 1-line block ×5, first 2 shown]
	s_andn2_b32 vcc_lo, exec_lo, s64
	s_cbranch_vccnz .LBB17_24
; %bb.23:                               ;   in Loop: Header=BB17_7 Depth=1
	v_mov_b32_e32 v16, v14
	v_mov_b32_e32 v18, v10
	;; [unrolled: 1-line block ×5, first 2 shown]
	ds_write_b32 v36, v42 offset:4
	global_store_dword v[11:12], v36, off
.LBB17_24:                              ;   in Loop: Header=BB17_7 Depth=1
	v_lshlrev_b64 v[20:21], 2, v[17:18]
	v_lshlrev_b64 v[17:18], 2, v[15:16]
	v_mov_b32_e32 v22, s58
	s_mov_b32 s2, exec_lo
	v_add_co_u32 v15, vcc_lo, s18, v20
	v_add_co_ci_u32_e64 v16, null, s19, v21, vcc_lo
	v_add_co_u32 v20, vcc_lo, s18, v17
	v_add_co_ci_u32_e64 v21, null, s19, v18, vcc_lo
	s_clause 0x1
	global_load_dword v15, v[15:16], off
	global_load_dword v16, v[20:21], off
	v_mov_b32_e32 v20, s58
	v_add_nc_u32_e32 v21, 1, v19
	ds_write2_b32 v36, v20, v19 offset1:5
	ds_write_b32 v36, v19 offset:32
	ds_write2_b32 v36, v21, v22 offset0:3 offset1:4
	s_waitcnt vmcnt(0)
	v_cmpx_lt_f32_e64 |v15|, |v16|
; %bb.25:                               ;   in Loop: Header=BB17_7 Depth=1
	v_mov_b32_e32 v16, s58
	ds_write2_b32 v36, v19, v16 offset1:5
; %bb.26:                               ;   in Loop: Header=BB17_7 Depth=1
	s_or_b32 exec_lo, exec_lo, s2
	v_and_b32_e32 v20, 0x7fffffff, v15
	s_mov_b32 s3, exec_lo
	v_cmpx_lt_i32_e64 s58, v19
	s_cbranch_execz .LBB17_30
; %bb.27:                               ;   in Loop: Header=BB17_7 Depth=1
	v_add_co_u32 v15, vcc_lo, s72, v17
	v_add_co_ci_u32_e64 v16, null, s73, v18, vcc_lo
	v_add_co_u32 v17, vcc_lo, s10, v17
	v_add_co_ci_u32_e64 v18, null, s33, v18, vcc_lo
	s_mov_b32 s37, 0
	.p2align	6
.LBB17_28:                              ;   Parent Loop BB17_7 Depth=1
                                        ; =>  This Inner Loop Header: Depth=2
	global_load_dword v21, v[15:16], off
	global_load_dword v22, v[17:18], off
	s_add_i32 s58, s58, 1
	v_add_co_u32 v15, vcc_lo, v15, 4
	v_add_co_ci_u32_e64 v16, null, 0, v16, vcc_lo
	v_add_co_u32 v17, vcc_lo, v17, 4
	v_cmp_ge_i32_e64 s2, s58, v19
	v_add_co_ci_u32_e64 v18, null, 0, v18, vcc_lo
	s_or_b32 s37, s2, s37
	s_waitcnt vmcnt(0)
	v_max3_f32 v20, v20, |v21|, |v22|
	s_andn2_b32 exec_lo, exec_lo, s37
	s_cbranch_execnz .LBB17_28
; %bb.29:                               ;   in Loop: Header=BB17_7 Depth=1
	s_or_b32 exec_lo, exec_lo, s37
.LBB17_30:                              ;   in Loop: Header=BB17_7 Depth=1
	s_or_b32 exec_lo, exec_lo, s3
	ds_write_b32 v36, v20 offset:24
.LBB17_31:                              ;   in Loop: Header=BB17_7 Depth=1
	s_or_b32 exec_lo, exec_lo, s4
	s_waitcnt lgkmcnt(0)
	s_waitcnt_vscnt null, 0x0
	s_barrier
	buffer_gl0_inv
	ds_read2_b32 v[15:16], v36 offset0:5 offset1:6
	ds_read_b32 v17, v36
	s_waitcnt lgkmcnt(1)
	v_cmp_eq_f32_e64 s2, 0, v16
	s_waitcnt lgkmcnt(0)
	v_cmp_eq_u32_e32 vcc_lo, v15, v17
	s_or_b32 s2, vcc_lo, s2
	s_and_b32 vcc_lo, exec_lo, s2
	s_cbranch_vccnz .LBB17_6
; %bb.32:                               ;   in Loop: Header=BB17_7 Depth=1
	v_cmp_nlt_f32_e32 vcc_lo, s27, v16
	s_mov_b32 s2, -1
	s_cbranch_vccz .LBB17_41
; %bb.33:                               ;   in Loop: Header=BB17_7 Depth=1
	v_cmp_ngt_f32_e32 vcc_lo, s26, v16
	s_cbranch_vccnz .LBB17_40
; %bb.34:                               ;   in Loop: Header=BB17_7 Depth=1
	v_div_scale_f32 v15, null, s26, s26, v16
	v_div_scale_f32 v20, vcc_lo, v16, s26, v16
	v_rcp_f32_e32 v19, v15
	v_fma_f32 v17, -v15, v19, 1.0
	v_fmac_f32_e32 v19, v17, v19
	ds_read2_b32 v[17:18], v36 offset0:4 offset1:8
	v_mul_f32_e32 v21, v20, v19
	v_fma_f32 v22, -v15, v21, v20
	v_fmac_f32_e32 v21, v22, v19
	v_fma_f32 v15, -v15, v21, v20
	v_div_fmas_f32 v15, v15, v19, v21
	v_div_fixup_f32 v15, v15, s26, v16
	s_and_saveexec_b32 s2, s0
	s_cbranch_execz .LBB17_36
; %bb.35:                               ;   in Loop: Header=BB17_7 Depth=1
	s_waitcnt lgkmcnt(0)
	v_ashrrev_i32_e32 v20, 31, v18
	v_mov_b32_e32 v19, v18
	v_lshlrev_b64 v[19:20], 2, v[19:20]
	v_add_co_u32 v19, vcc_lo, s18, v19
	v_add_co_ci_u32_e64 v20, null, s19, v20, vcc_lo
	global_load_dword v21, v[19:20], off
	s_waitcnt vmcnt(0)
	v_mul_f32_e32 v21, v15, v21
	global_store_dword v[19:20], v21, off
.LBB17_36:                              ;   in Loop: Header=BB17_7 Depth=1
	s_or_b32 exec_lo, exec_lo, s2
	s_waitcnt lgkmcnt(0)
	v_add_nc_u32_e32 v19, v17, v0
	s_mov_b32 s3, exec_lo
	v_cmpx_lt_i32_e64 v19, v18
	s_cbranch_execz .LBB17_39
; %bb.37:                               ;   in Loop: Header=BB17_7 Depth=1
	v_ashrrev_i32_e32 v20, 31, v19
	s_mov_b32 s4, 0
	v_lshlrev_b64 v[20:21], 2, v[19:20]
	.p2align	6
.LBB17_38:                              ;   Parent Loop BB17_7 Depth=1
                                        ; =>  This Inner Loop Header: Depth=2
	v_add_co_u32 v22, vcc_lo, s18, v20
	v_add_co_ci_u32_e64 v23, null, s19, v21, vcc_lo
	v_add_co_u32 v24, vcc_lo, s10, v20
	v_add_co_ci_u32_e64 v25, null, s33, v21, vcc_lo
	global_load_dword v17, v[22:23], off
	v_add_nc_u32_e32 v19, s30, v19
	v_add_co_u32 v20, vcc_lo, v20, s44
	v_add_co_ci_u32_e64 v21, null, s45, v21, vcc_lo
	v_cmp_ge_i32_e64 s2, v19, v18
	s_or_b32 s4, s2, s4
	s_waitcnt vmcnt(0)
	v_mul_f32_e32 v17, v15, v17
	global_store_dword v[22:23], v17, off
	global_load_dword v17, v[24:25], off
	s_waitcnt vmcnt(0)
	v_mul_f32_e32 v17, v15, v17
	global_store_dword v[24:25], v17, off
	s_andn2_b32 exec_lo, exec_lo, s4
	s_cbranch_execnz .LBB17_38
.LBB17_39:                              ;   in Loop: Header=BB17_7 Depth=1
	s_or_b32 exec_lo, exec_lo, s3
.LBB17_40:                              ;   in Loop: Header=BB17_7 Depth=1
	s_mov_b32 s2, 0
.LBB17_41:                              ;   in Loop: Header=BB17_7 Depth=1
	s_andn2_b32 vcc_lo, exec_lo, s2
	s_cbranch_vccnz .LBB17_48
; %bb.42:                               ;   in Loop: Header=BB17_7 Depth=1
	v_div_scale_f32 v15, null, s27, s27, v16
	v_div_scale_f32 v20, vcc_lo, v16, s27, v16
	v_rcp_f32_e32 v19, v15
	v_fma_f32 v17, -v15, v19, 1.0
	v_fmac_f32_e32 v19, v17, v19
	ds_read2_b32 v[17:18], v36 offset0:4 offset1:8
	v_mul_f32_e32 v21, v20, v19
	v_fma_f32 v22, -v15, v21, v20
	v_fmac_f32_e32 v21, v22, v19
	v_fma_f32 v15, -v15, v21, v20
	v_div_fmas_f32 v15, v15, v19, v21
	v_div_fixup_f32 v19, v15, s27, v16
	s_and_saveexec_b32 s2, s0
	s_cbranch_execz .LBB17_44
; %bb.43:                               ;   in Loop: Header=BB17_7 Depth=1
	s_waitcnt lgkmcnt(0)
	v_ashrrev_i32_e32 v16, 31, v18
	v_mov_b32_e32 v15, v18
	v_lshlrev_b64 v[15:16], 2, v[15:16]
	v_add_co_u32 v15, vcc_lo, s18, v15
	v_add_co_ci_u32_e64 v16, null, s19, v16, vcc_lo
	global_load_dword v20, v[15:16], off
	s_waitcnt vmcnt(0)
	v_mul_f32_e32 v20, v19, v20
	global_store_dword v[15:16], v20, off
.LBB17_44:                              ;   in Loop: Header=BB17_7 Depth=1
	s_or_b32 exec_lo, exec_lo, s2
	s_waitcnt lgkmcnt(0)
	v_add_nc_u32_e32 v15, v17, v0
	s_mov_b32 s3, exec_lo
	v_cmpx_lt_i32_e64 v15, v18
	s_cbranch_execz .LBB17_47
; %bb.45:                               ;   in Loop: Header=BB17_7 Depth=1
	v_ashrrev_i32_e32 v16, 31, v15
	s_mov_b32 s4, 0
	v_lshlrev_b64 v[16:17], 2, v[15:16]
	.p2align	6
.LBB17_46:                              ;   Parent Loop BB17_7 Depth=1
                                        ; =>  This Inner Loop Header: Depth=2
	v_add_co_u32 v20, vcc_lo, s18, v16
	v_add_co_ci_u32_e64 v21, null, s19, v17, vcc_lo
	v_add_co_u32 v22, vcc_lo, s10, v16
	v_add_nc_u32_e32 v15, s30, v15
	global_load_dword v23, v[20:21], off
	v_cmp_ge_i32_e64 s2, v15, v18
	s_or_b32 s4, s2, s4
	s_waitcnt vmcnt(0)
	v_mul_f32_e32 v24, v19, v23
	v_add_co_ci_u32_e64 v23, null, s33, v17, vcc_lo
	v_add_co_u32 v16, vcc_lo, v16, s44
	global_store_dword v[20:21], v24, off
	global_load_dword v20, v[22:23], off
	v_add_co_ci_u32_e64 v17, null, s45, v17, vcc_lo
	s_waitcnt vmcnt(0)
	v_mul_f32_e32 v20, v19, v20
	global_store_dword v[22:23], v20, off
	s_andn2_b32 exec_lo, exec_lo, s4
	s_cbranch_execnz .LBB17_46
.LBB17_47:                              ;   in Loop: Header=BB17_7 Depth=1
	s_or_b32 exec_lo, exec_lo, s3
.LBB17_48:                              ;   in Loop: Header=BB17_7 Depth=1
	s_waitcnt_vscnt null, 0x0
	s_barrier
	buffer_gl0_inv
	ds_read_b32 v18, v36 offset:28
	ds_read2_b32 v[15:16], v36 offset1:5
	s_mov_b32 s4, -1
                                        ; implicit-def: $vgpr21_vgpr22
	s_waitcnt lgkmcnt(1)
	v_cmp_gt_i32_e64 s2, s24, v18
	s_waitcnt lgkmcnt(0)
	v_cmp_lt_i32_e32 vcc_lo, v16, v15
	v_mov_b32_e32 v17, v16
                                        ; implicit-def: $vgpr16
	v_cndmask_b32_e64 v19, 0, 1, s2
	v_cmp_ne_u32_e64 s3, 1, v19
                                        ; implicit-def: $vgpr19_vgpr20
	s_cbranch_vccnz .LBB17_51
; %bb.49:                               ;   in Loop: Header=BB17_7 Depth=1
	v_mov_b32_e32 v22, v6
	v_mov_b32_e32 v20, v4
	;; [unrolled: 1-line block ×8, first 2 shown]
	s_and_b32 vcc_lo, exec_lo, s3
	s_cbranch_vccz .LBB17_147
.LBB17_50:                              ;   in Loop: Header=BB17_7 Depth=1
	s_mov_b32 s4, 0
.LBB17_51:                              ;   in Loop: Header=BB17_7 Depth=1
	s_andn2_b32 vcc_lo, exec_lo, s4
	s_cbranch_vccz .LBB17_68
; %bb.52:                               ;   in Loop: Header=BB17_7 Depth=1
	v_mov_b32_e32 v3, v19
	v_mov_b32_e32 v5, v21
	;; [unrolled: 1-line block ×5, first 2 shown]
.LBB17_53:                              ;   in Loop: Header=BB17_7 Depth=1
	s_barrier
	buffer_gl0_inv
	ds_read_b32 v20, v36 offset:24
	s_waitcnt lgkmcnt(0)
	v_cmp_nlt_f32_e32 vcc_lo, s27, v20
	s_cbranch_vccnz .LBB17_60
; %bb.54:                               ;   in Loop: Header=BB17_7 Depth=1
	v_div_scale_f32 v17, null, v20, v20, s27
	v_div_scale_f32 v19, vcc_lo, s27, v20, s27
	v_rcp_f32_e32 v18, v17
	v_fma_f32 v15, -v17, v18, 1.0
	v_fmac_f32_e32 v18, v15, v18
	ds_read2_b32 v[15:16], v36 offset0:4 offset1:8
	v_mul_f32_e32 v21, v19, v18
	v_fma_f32 v22, -v17, v21, v19
	v_fmac_f32_e32 v21, v22, v18
	v_fma_f32 v17, -v17, v21, v19
	v_div_fmas_f32 v17, v17, v18, v21
	v_div_fixup_f32 v21, v17, v20, s27
	s_and_saveexec_b32 s2, s0
	s_cbranch_execz .LBB17_56
; %bb.55:                               ;   in Loop: Header=BB17_7 Depth=1
	s_waitcnt lgkmcnt(0)
	v_ashrrev_i32_e32 v18, 31, v16
	v_mov_b32_e32 v17, v16
	v_lshlrev_b64 v[17:18], 2, v[17:18]
	v_add_co_u32 v17, vcc_lo, s18, v17
	v_add_co_ci_u32_e64 v18, null, s19, v18, vcc_lo
	global_load_dword v19, v[17:18], off
	s_waitcnt vmcnt(0)
	v_mul_f32_e32 v19, v21, v19
	global_store_dword v[17:18], v19, off
.LBB17_56:                              ;   in Loop: Header=BB17_7 Depth=1
	s_or_b32 exec_lo, exec_lo, s2
	s_waitcnt lgkmcnt(0)
	v_add_nc_u32_e32 v17, v15, v0
	s_mov_b32 s3, exec_lo
	v_cmpx_lt_i32_e64 v17, v16
	s_cbranch_execz .LBB17_59
; %bb.57:                               ;   in Loop: Header=BB17_7 Depth=1
	v_ashrrev_i32_e32 v18, 31, v17
	s_mov_b32 s4, 0
	v_lshlrev_b64 v[18:19], 2, v[17:18]
	.p2align	6
.LBB17_58:                              ;   Parent Loop BB17_7 Depth=1
                                        ; =>  This Inner Loop Header: Depth=2
	v_add_co_u32 v22, vcc_lo, s18, v18
	v_add_co_ci_u32_e64 v23, null, s19, v19, vcc_lo
	v_add_co_u32 v24, vcc_lo, s10, v18
	v_add_co_ci_u32_e64 v25, null, s33, v19, vcc_lo
	global_load_dword v15, v[22:23], off
	v_add_nc_u32_e32 v17, s30, v17
	v_add_co_u32 v18, vcc_lo, v18, s44
	v_add_co_ci_u32_e64 v19, null, s45, v19, vcc_lo
	v_cmp_ge_i32_e64 s2, v17, v16
	s_or_b32 s4, s2, s4
	s_waitcnt vmcnt(0)
	v_mul_f32_e32 v15, v21, v15
	global_store_dword v[22:23], v15, off
	global_load_dword v15, v[24:25], off
	s_waitcnt vmcnt(0)
	v_mul_f32_e32 v15, v21, v15
	global_store_dword v[24:25], v15, off
	s_andn2_b32 exec_lo, exec_lo, s4
	s_cbranch_execnz .LBB17_58
.LBB17_59:                              ;   in Loop: Header=BB17_7 Depth=1
	s_or_b32 exec_lo, exec_lo, s3
.LBB17_60:                              ;   in Loop: Header=BB17_7 Depth=1
	v_cmp_ngt_f32_e32 vcc_lo, s26, v20
	s_cbranch_vccnz .LBB17_5
; %bb.61:                               ;   in Loop: Header=BB17_7 Depth=1
	v_div_scale_f32 v17, null, v20, v20, s26
	v_div_scale_f32 v19, vcc_lo, s26, v20, s26
	v_rcp_f32_e32 v18, v17
	v_fma_f32 v15, -v17, v18, 1.0
	v_fmac_f32_e32 v18, v15, v18
	ds_read2_b32 v[15:16], v36 offset0:4 offset1:8
	v_mul_f32_e32 v21, v19, v18
	v_fma_f32 v22, -v17, v21, v19
	v_fmac_f32_e32 v21, v22, v18
	v_fma_f32 v17, -v17, v21, v19
	v_div_fmas_f32 v17, v17, v18, v21
	v_div_fixup_f32 v20, v17, v20, s26
	s_and_saveexec_b32 s2, s0
	s_cbranch_execz .LBB17_63
; %bb.62:                               ;   in Loop: Header=BB17_7 Depth=1
	s_waitcnt lgkmcnt(0)
	v_ashrrev_i32_e32 v18, 31, v16
	v_mov_b32_e32 v17, v16
	v_lshlrev_b64 v[17:18], 2, v[17:18]
	v_add_co_u32 v17, vcc_lo, s18, v17
	v_add_co_ci_u32_e64 v18, null, s19, v18, vcc_lo
	global_load_dword v19, v[17:18], off
	s_waitcnt vmcnt(0)
	v_mul_f32_e32 v19, v20, v19
	global_store_dword v[17:18], v19, off
.LBB17_63:                              ;   in Loop: Header=BB17_7 Depth=1
	s_or_b32 exec_lo, exec_lo, s2
	s_waitcnt lgkmcnt(0)
	v_add_nc_u32_e32 v17, v15, v0
	s_mov_b32 s3, exec_lo
	v_cmpx_lt_i32_e64 v17, v16
	s_cbranch_execz .LBB17_4
; %bb.64:                               ;   in Loop: Header=BB17_7 Depth=1
	v_ashrrev_i32_e32 v18, 31, v17
	s_mov_b32 s4, 0
	v_lshlrev_b64 v[18:19], 2, v[17:18]
	.p2align	6
.LBB17_65:                              ;   Parent Loop BB17_7 Depth=1
                                        ; =>  This Inner Loop Header: Depth=2
	v_add_co_u32 v21, vcc_lo, s18, v18
	v_add_co_ci_u32_e64 v22, null, s19, v19, vcc_lo
	v_add_co_u32 v23, vcc_lo, s10, v18
	v_add_co_ci_u32_e64 v24, null, s33, v19, vcc_lo
	global_load_dword v15, v[21:22], off
	v_add_nc_u32_e32 v17, s30, v17
	v_add_co_u32 v18, vcc_lo, v18, s44
	v_add_co_ci_u32_e64 v19, null, s45, v19, vcc_lo
	v_cmp_ge_i32_e64 s2, v17, v16
	s_or_b32 s4, s2, s4
	s_waitcnt vmcnt(0)
	v_mul_f32_e32 v15, v20, v15
	global_store_dword v[21:22], v15, off
	global_load_dword v15, v[23:24], off
	s_waitcnt vmcnt(0)
	v_mul_f32_e32 v15, v20, v15
	global_store_dword v[23:24], v15, off
	s_andn2_b32 exec_lo, exec_lo, s4
	s_cbranch_execnz .LBB17_65
	s_branch .LBB17_4
.LBB17_66:                              ;   in Loop: Header=BB17_68 Depth=2
	s_or_b32 exec_lo, exec_lo, s4
	s_waitcnt_vscnt null, 0x0
	s_barrier
	buffer_gl0_inv
	ds_read_b32 v15, v36
.LBB17_67:                              ;   in Loop: Header=BB17_68 Depth=2
	ds_read2_b32 v[17:18], v36 offset0:5 offset1:7
	s_waitcnt lgkmcnt(0)
	v_cmp_ge_i32_e32 vcc_lo, v15, v17
	v_cmp_gt_i32_e64 s2, s24, v18
	s_and_b32 s2, vcc_lo, s2
.LBB17_68:                              ;   Parent Loop BB17_7 Depth=1
                                        ; =>  This Loop Header: Depth=2
                                        ;       Child Loop BB17_75 Depth 3
                                        ;       Child Loop BB17_95 Depth 3
	;; [unrolled: 1-line block ×3, first 2 shown]
                                        ;         Child Loop BB17_143 Depth 4
	s_andn2_b32 vcc_lo, exec_lo, s2
	s_cbranch_vccnz .LBB17_53
; %bb.69:                               ;   in Loop: Header=BB17_68 Depth=2
	s_and_saveexec_b32 s4, s0
	s_cbranch_execz .LBB17_138
; %bb.70:                               ;   in Loop: Header=BB17_68 Depth=2
	v_cmp_gt_i32_e32 vcc_lo, v15, v17
	s_mov_b32 s2, 0
	s_cbranch_vccnz .LBB17_72
; %bb.71:                               ;   in Loop: Header=BB17_68 Depth=2
	v_ashrrev_i32_e32 v16, 31, v15
	s_mov_b32 s3, -1
	v_mov_b32_e32 v21, v16
	v_mov_b32_e32 v20, v15
	;; [unrolled: 1-line block ×3, first 2 shown]
	s_cbranch_execz .LBB17_73
	s_branch .LBB17_78
.LBB17_72:                              ;   in Loop: Header=BB17_68 Depth=2
	s_mov_b32 s3, 0
                                        ; implicit-def: $vgpr20_vgpr21
	v_mov_b32_e32 v19, v15
.LBB17_73:                              ;   in Loop: Header=BB17_68 Depth=2
	v_ashrrev_i32_e32 v16, 31, v15
	v_mov_b32_e32 v19, v15
	v_lshlrev_b64 v[7:8], 2, v[15:16]
	v_add_co_u32 v1, vcc_lo, s10, v7
	v_add_co_ci_u32_e64 v2, null, s33, v8, vcc_lo
	v_add_co_u32 v7, vcc_lo, s78, v7
	v_add_co_ci_u32_e64 v8, null, s79, v8, vcc_lo
	s_branch .LBB17_75
	.p2align	6
.LBB17_74:                              ;   in Loop: Header=BB17_75 Depth=3
	v_add_nc_u32_e32 v19, -1, v41
	v_add_co_u32 v7, vcc_lo, v7, -4
	v_add_co_ci_u32_e64 v8, null, -1, v8, vcc_lo
	v_cmp_le_i32_e64 s3, v19, v17
	s_mov_b32 s2, 0
	v_add_co_u32 v1, vcc_lo, v1, -4
	v_add_co_ci_u32_e64 v2, null, -1, v2, vcc_lo
	s_andn2_b32 vcc_lo, exec_lo, s3
	s_cbranch_vccz .LBB17_77
.LBB17_75:                              ;   Parent Loop BB17_7 Depth=1
                                        ;     Parent Loop BB17_68 Depth=2
                                        ; =>    This Inner Loop Header: Depth=3
	global_load_dwordx2 v[20:21], v[7:8], off
	global_load_dword v22, v[1:2], off offset:-4
	v_mov_b32_e32 v41, v19
	s_waitcnt vmcnt(1)
	v_mul_f32_e32 v20, v21, v20
	s_waitcnt vmcnt(0)
	v_mul_f32_e32 v21, v22, v22
	v_mul_f32_e64 v20, v37, |v20|
	v_cmp_le_f32_e64 s2, |v21|, v20
	s_and_b32 vcc_lo, exec_lo, s2
	s_cbranch_vccz .LBB17_74
; %bb.76:                               ;   in Loop: Header=BB17_68 Depth=2
	s_mov_b32 s2, -1
                                        ; implicit-def: $vgpr19
                                        ; implicit-def: $vgpr7_vgpr8
	v_add_co_u32 v1, vcc_lo, v1, -4
	v_add_co_ci_u32_e64 v2, null, -1, v2, vcc_lo
.LBB17_77:                              ;   in Loop: Header=BB17_68 Depth=2
	v_mov_b32_e32 v7, v15
	v_mov_b32_e32 v21, v16
	;; [unrolled: 1-line block ×5, first 2 shown]
	s_xor_b32 s3, s2, -1
	s_mov_b32 s2, -1
.LBB17_78:                              ;   in Loop: Header=BB17_68 Depth=2
	s_and_b32 vcc_lo, exec_lo, s3
	s_cbranch_vccnz .LBB17_107
; %bb.79:                               ;   in Loop: Header=BB17_68 Depth=2
	s_andn2_b32 vcc_lo, exec_lo, s2
	s_cbranch_vccnz .LBB17_81
.LBB17_80:                              ;   in Loop: Header=BB17_68 Depth=2
	v_mov_b32_e32 v21, v8
	v_mov_b32_e32 v20, v7
	;; [unrolled: 1-line block ×3, first 2 shown]
	ds_write2_b32 v36, v41, v15 offset0:1 offset1:4
	global_store_dword v[1:2], v36, off
.LBB17_81:                              ;   in Loop: Header=BB17_68 Depth=2
	v_lshlrev_b64 v[21:22], 2, v[20:21]
	v_add_nc_u32_e32 v20, -1, v15
	s_mov_b32 s2, exec_lo
	v_add_co_u32 v16, vcc_lo, s18, v21
	v_add_co_ci_u32_e64 v17, null, s19, v22, vcc_lo
	global_load_dword v27, v[16:17], off
	s_waitcnt vmcnt(0)
	ds_write_b32 v36, v27 offset:8
	v_cmpx_ne_u32_e64 v19, v15
	s_xor_b32 s37, exec_lo, s2
	s_cbranch_execz .LBB17_135
; %bb.82:                               ;   in Loop: Header=BB17_68 Depth=2
	s_mov_b32 s2, exec_lo
	v_cmpx_ne_u32_e64 v19, v20
	s_xor_b32 s3, exec_lo, s2
	s_cbranch_execz .LBB17_111
; %bb.83:                               ;   in Loop: Header=BB17_68 Depth=2
	v_add_co_u32 v21, vcc_lo, s10, v21
	v_add_co_ci_u32_e64 v22, null, s33, v22, vcc_lo
	v_ashrrev_i32_e32 v20, 31, v19
	v_add_nc_u32_e32 v18, 1, v18
	global_load_dword v29, v[16:17], off offset:-4
	global_load_dword v30, v[21:22], off offset:-4
	s_mov_b32 s58, exec_lo
	v_lshlrev_b64 v[25:26], 2, v[19:20]
	ds_write2_b32 v36, v36, v18 offset0:2 offset1:7
	v_add_co_u32 v23, vcc_lo, s18, v25
	v_add_co_ci_u32_e64 v24, null, s19, v26, vcc_lo
	global_load_dword v28, v[23:24], off
	s_waitcnt vmcnt(2)
	v_sub_f32_e32 v20, v29, v27
	s_waitcnt vmcnt(1)
	v_add_f32_e32 v29, v30, v30
	v_div_scale_f32 v31, null, v29, v29, v20
	v_div_scale_f32 v34, vcc_lo, v20, v29, v20
	v_rcp_f32_e32 v32, v31
	v_fma_f32 v33, -v31, v32, 1.0
	v_fmac_f32_e32 v32, v33, v32
	v_mul_f32_e32 v33, v34, v32
	v_fma_f32 v35, -v31, v33, v34
	v_fmac_f32_e32 v33, v35, v32
	v_fma_f32 v31, -v31, v33, v34
	v_div_fmas_f32 v31, v31, v32, v33
	v_div_fixup_f32 v20, v31, v29, v20
	v_fma_f32 v29, v20, v20, 1.0
	v_mul_f32_e32 v31, 0x4f800000, v29
	v_cmp_gt_f32_e32 vcc_lo, 0xf800000, v29
	v_cndmask_b32_e32 v29, v29, v31, vcc_lo
	v_sqrt_f32_e32 v31, v29
	v_add_nc_u32_e32 v32, -1, v31
	v_add_nc_u32_e32 v33, 1, v31
	v_fma_f32 v34, -v32, v31, v29
	v_fma_f32 v35, -v33, v31, v29
	v_cmp_ge_f32_e64 s2, 0, v34
	v_cndmask_b32_e64 v31, v31, v32, s2
	v_cmp_lt_f32_e64 s2, 0, v35
	v_cndmask_b32_e64 v31, v31, v33, s2
	v_mul_f32_e32 v32, 0x37800000, v31
	v_cndmask_b32_e32 v31, v31, v32, vcc_lo
	v_cmp_class_f32_e64 vcc_lo, v29, 0x260
	v_cndmask_b32_e32 v29, v31, v29, vcc_lo
	v_cmp_nle_f32_e32 vcc_lo, 0, v20
	v_cndmask_b32_e64 v29, |v29|, -|v29|, vcc_lo
	v_add_f32_e32 v20, v20, v29
	v_div_scale_f32 v29, null, v20, v20, v30
	v_div_scale_f32 v33, vcc_lo, v30, v20, v30
	v_rcp_f32_e32 v31, v29
	v_fma_f32 v32, -v29, v31, 1.0
	v_fmac_f32_e32 v31, v32, v31
	v_mul_f32_e32 v32, v33, v31
	v_fma_f32 v34, -v29, v32, v33
	v_fmac_f32_e32 v32, v34, v31
	v_fma_f32 v29, -v29, v32, v33
	v_div_fmas_f32 v29, v29, v31, v32
	s_waitcnt vmcnt(0)
	v_sub_f32_e32 v31, v28, v27
	v_div_fixup_f32 v20, v29, v20, v30
	v_mov_b32_e32 v29, 0
	v_add_f32_e32 v20, v31, v20
	v_cmpx_lt_i32_e64 v19, v15
	s_cbranch_execz .LBB17_110
; %bb.84:                               ;   in Loop: Header=BB17_68 Depth=2
	v_add_co_u32 v29, vcc_lo, s10, v25
	v_add_co_ci_u32_e64 v30, null, s33, v26, vcc_lo
	v_mov_b32_e32 v32, 0
	v_mov_b32_e32 v18, 1.0
	s_mov_b32 s59, exec_lo
	global_load_dword v30, v[29:30], off
	s_waitcnt vmcnt(0)
	v_cmpx_neq_f32_e32 0, v30
	s_cbranch_execz .LBB17_92
; %bb.85:                               ;   in Loop: Header=BB17_68 Depth=2
	v_mov_b32_e32 v18, 0
	v_mov_b32_e32 v32, 1.0
	s_mov_b32 s60, exec_lo
	v_cmpx_neq_f32_e32 0, v20
	s_cbranch_execz .LBB17_91
; %bb.86:                               ;   in Loop: Header=BB17_68 Depth=2
	s_mov_b32 s61, exec_lo
                                        ; implicit-def: $vgpr32
                                        ; implicit-def: $vgpr18
	v_cmpx_ngt_f32_e64 |v30|, |v20|
	s_xor_b32 s61, exec_lo, s61
	s_cbranch_execz .LBB17_88
; %bb.87:                               ;   in Loop: Header=BB17_68 Depth=2
	v_div_scale_f32 v18, null, v20, v20, -v30
	v_div_scale_f32 v31, vcc_lo, -v30, v20, -v30
	v_rcp_f32_e32 v27, v18
	v_fma_f32 v29, -v18, v27, 1.0
	v_fmac_f32_e32 v27, v29, v27
	v_mul_f32_e32 v29, v31, v27
	v_fma_f32 v32, -v18, v29, v31
	v_fmac_f32_e32 v29, v32, v27
	v_fma_f32 v18, -v18, v29, v31
	v_div_fmas_f32 v18, v18, v27, v29
	v_div_fixup_f32 v20, v18, v20, -v30
	v_fma_f32 v18, v20, v20, 1.0
	v_mul_f32_e32 v27, 0x4f800000, v18
	v_cmp_gt_f32_e32 vcc_lo, 0xf800000, v18
	v_cndmask_b32_e32 v18, v18, v27, vcc_lo
	v_sqrt_f32_e32 v27, v18
	v_add_nc_u32_e32 v29, -1, v27
	v_add_nc_u32_e32 v31, 1, v27
	v_fma_f32 v32, -v29, v27, v18
	v_fma_f32 v33, -v31, v27, v18
	v_cmp_ge_f32_e64 s2, 0, v32
	v_cndmask_b32_e64 v27, v27, v29, s2
	v_cmp_lt_f32_e64 s2, 0, v33
	v_cndmask_b32_e64 v27, v27, v31, s2
	v_mul_f32_e32 v29, 0x37800000, v27
	v_cndmask_b32_e32 v27, v27, v29, vcc_lo
	v_cmp_class_f32_e64 vcc_lo, v18, 0x260
	v_cndmask_b32_e32 v18, v27, v18, vcc_lo
	v_div_scale_f32 v27, null, v18, v18, 1.0
	v_rcp_f32_e32 v29, v27
	v_fma_f32 v31, -v27, v29, 1.0
	v_fmac_f32_e32 v29, v31, v29
	v_div_scale_f32 v31, vcc_lo, 1.0, v18, 1.0
	v_mul_f32_e32 v32, v31, v29
	v_fma_f32 v33, -v27, v32, v31
	v_fmac_f32_e32 v32, v33, v29
	v_fma_f32 v27, -v27, v32, v31
	v_div_fmas_f32 v27, v27, v29, v32
	v_div_fixup_f32 v18, v27, v18, 1.0
	v_mul_f32_e32 v32, v20, v18
                                        ; implicit-def: $vgpr20
.LBB17_88:                              ;   in Loop: Header=BB17_68 Depth=2
	s_andn2_saveexec_b32 s61, s61
	s_cbranch_execz .LBB17_90
; %bb.89:                               ;   in Loop: Header=BB17_68 Depth=2
	v_div_scale_f32 v18, null, v30, v30, -v20
	v_div_scale_f32 v31, vcc_lo, -v20, v30, -v20
	v_rcp_f32_e32 v27, v18
	v_fma_f32 v29, -v18, v27, 1.0
	v_fmac_f32_e32 v27, v29, v27
	v_mul_f32_e32 v29, v31, v27
	v_fma_f32 v32, -v18, v29, v31
	v_fmac_f32_e32 v29, v32, v27
	v_fma_f32 v18, -v18, v29, v31
	v_div_fmas_f32 v18, v18, v27, v29
	v_div_fixup_f32 v18, v18, v30, -v20
	v_fma_f32 v20, v18, v18, 1.0
	v_mul_f32_e32 v27, 0x4f800000, v20
	v_cmp_gt_f32_e32 vcc_lo, 0xf800000, v20
	v_cndmask_b32_e32 v20, v20, v27, vcc_lo
	v_sqrt_f32_e32 v27, v20
	v_add_nc_u32_e32 v29, -1, v27
	v_add_nc_u32_e32 v31, 1, v27
	v_fma_f32 v32, -v29, v27, v20
	v_fma_f32 v33, -v31, v27, v20
	v_cmp_ge_f32_e64 s2, 0, v32
	v_cndmask_b32_e64 v27, v27, v29, s2
	v_cmp_lt_f32_e64 s2, 0, v33
	v_cndmask_b32_e64 v27, v27, v31, s2
	v_mul_f32_e32 v29, 0x37800000, v27
	v_cndmask_b32_e32 v27, v27, v29, vcc_lo
	v_cmp_class_f32_e64 vcc_lo, v20, 0x260
	v_cndmask_b32_e32 v20, v27, v20, vcc_lo
	v_div_scale_f32 v27, null, v20, v20, 1.0
	v_rcp_f32_e32 v29, v27
	v_fma_f32 v31, -v27, v29, 1.0
	v_fmac_f32_e32 v29, v31, v29
	v_div_scale_f32 v31, vcc_lo, 1.0, v20, 1.0
	v_mul_f32_e32 v32, v31, v29
	v_fma_f32 v33, -v27, v32, v31
	v_fmac_f32_e32 v32, v33, v29
	v_fma_f32 v27, -v27, v32, v31
	v_div_fmas_f32 v27, v27, v29, v32
	v_div_fixup_f32 v32, v27, v20, 1.0
	v_mul_f32_e32 v18, v18, v32
.LBB17_90:                              ;   in Loop: Header=BB17_68 Depth=2
	s_or_b32 exec_lo, exec_lo, s61
.LBB17_91:                              ;   in Loop: Header=BB17_68 Depth=2
	s_or_b32 exec_lo, exec_lo, s60
.LBB17_92:                              ;   in Loop: Header=BB17_68 Depth=2
	s_or_b32 exec_lo, exec_lo, s59
	global_load_dword v20, v[23:24], off offset:4
	v_add_f32_e32 v29, v18, v18
	v_add_co_u32 v25, vcc_lo, s70, v25
	v_add_co_ci_u32_e64 v26, null, s71, v26, vcc_lo
	v_xor_b32_e32 v31, 0x80000000, v32
	v_add_nc_u32_e32 v27, 1, v19
	s_mov_b32 s59, exec_lo
	s_waitcnt vmcnt(0)
	v_sub_f32_e32 v20, v20, v28
	v_mul_f32_e32 v20, v32, v20
	v_fma_f32 v20, v30, v29, -v20
	v_mul_f32_e64 v29, v20, -v32
	v_fma_f32 v28, v20, -v32, v28
	v_add_co_u32 v32, vcc_lo, v25, s42
	v_fma_f32 v20, v18, v20, -v30
	v_add_co_ci_u32_e64 v33, null, s43, v26, vcc_lo
	ds_write_b32 v36, v29 offset:8
	global_store_dword v[23:24], v28, off
	global_store_dword v[25:26], v18, off
	global_store_dword v[32:33], v31, off offset:-4
	v_cmpx_lt_i32_e64 v27, v15
	s_cbranch_execz .LBB17_109
; %bb.93:                               ;   in Loop: Header=BB17_68 Depth=2
	v_ashrrev_i32_e32 v28, 31, v27
	s_mov_b32 s61, 1
	s_mov_b32 s60, 0
	v_lshlrev_b64 v[27:28], 2, v[27:28]
	v_add_co_u32 v23, vcc_lo, s70, v27
	v_add_co_ci_u32_e64 v24, null, s71, v28, vcc_lo
	v_add_co_u32 v25, vcc_lo, s50, v27
	v_add_co_ci_u32_e64 v26, null, s51, v28, vcc_lo
	;; [unrolled: 2-line block ×3, first 2 shown]
	s_branch .LBB17_95
.LBB17_94:                              ;   in Loop: Header=BB17_95 Depth=3
	global_load_dwordx2 v[34:35], v[27:28], off
	v_mul_f32_e32 v18, v18, v30
	v_add_f32_e32 v30, v32, v32
	v_add_co_u32 v25, vcc_lo, v25, 4
	s_add_i32 s61, s61, 1
	v_add_co_ci_u32_e64 v26, null, 0, v26, vcc_lo
	v_xor_b32_e32 v31, 0x80000000, v33
	s_waitcnt vmcnt(0)
	v_sub_f32_e32 v20, v34, v29
	v_add_co_u32 v34, vcc_lo, v27, 4
	v_sub_f32_e32 v29, v35, v20
	v_add_co_ci_u32_e64 v35, null, 0, v28, vcc_lo
	v_add_co_u32 v43, vcc_lo, v23, s7
	v_mul_f32_e32 v29, v33, v29
	v_add_co_ci_u32_e64 v44, null, s76, v24, vcc_lo
	v_fma_f32 v30, v18, v30, -v29
	v_add_nc_u32_e32 v29, s61, v19
	v_fma_f32 v45, v30, -v33, v20
	v_cmp_ge_i32_e32 vcc_lo, v29, v15
	v_mul_f32_e64 v29, v30, -v33
	v_fma_f32 v20, v32, v30, -v18
	v_mov_b32_e32 v18, v32
	global_store_dword v[27:28], v45, off
	global_store_dword v[23:24], v32, off
	v_add_co_u32 v23, s2, v23, 4
	v_mov_b32_e32 v27, v34
	v_add_co_ci_u32_e64 v24, null, 0, v24, s2
	v_mov_b32_e32 v28, v35
	s_or_b32 s60, vcc_lo, s60
	global_store_dword v[43:44], v31, off
	s_andn2_b32 exec_lo, exec_lo, s60
	s_cbranch_execz .LBB17_108
.LBB17_95:                              ;   Parent Loop BB17_7 Depth=1
                                        ;     Parent Loop BB17_68 Depth=2
                                        ; =>    This Inner Loop Header: Depth=3
	global_load_dword v30, v[25:26], off offset:4
	v_mov_b32_e32 v33, 0
	v_mov_b32_e32 v32, 1.0
	s_mov_b32 s62, exec_lo
	s_waitcnt vmcnt(0)
	v_mul_f32_e32 v31, v31, v30
	v_cmpx_neq_f32_e32 0, v31
	s_cbranch_execz .LBB17_105
; %bb.96:                               ;   in Loop: Header=BB17_95 Depth=3
	v_xor_b32_e32 v34, 0x80000000, v31
                                        ; implicit-def: $vgpr33
                                        ; implicit-def: $vgpr32
	s_mov_b32 s2, exec_lo
	v_cmpx_neq_f32_e32 0, v20
	s_xor_b32 s63, exec_lo, s2
	s_cbranch_execz .LBB17_102
; %bb.97:                               ;   in Loop: Header=BB17_95 Depth=3
	s_mov_b32 s64, exec_lo
                                        ; implicit-def: $vgpr33
                                        ; implicit-def: $vgpr32
	v_cmpx_ngt_f32_e64 |v31|, |v20|
	s_xor_b32 s64, exec_lo, s64
	s_cbranch_execz .LBB17_99
; %bb.98:                               ;   in Loop: Header=BB17_95 Depth=3
	v_div_scale_f32 v32, null, v20, v20, -v31
	v_div_scale_f32 v35, vcc_lo, -v31, v20, -v31
	v_rcp_f32_e32 v33, v32
	v_fma_f32 v34, -v32, v33, 1.0
	v_fmac_f32_e32 v33, v34, v33
	v_mul_f32_e32 v34, v35, v33
	v_fma_f32 v43, -v32, v34, v35
	v_fmac_f32_e32 v34, v43, v33
	v_fma_f32 v32, -v32, v34, v35
	v_div_fmas_f32 v32, v32, v33, v34
	v_div_fixup_f32 v33, v32, v20, -v31
	v_fma_f32 v32, v33, v33, 1.0
	v_mul_f32_e32 v34, 0x4f800000, v32
	v_cmp_gt_f32_e32 vcc_lo, 0xf800000, v32
	v_cndmask_b32_e32 v32, v32, v34, vcc_lo
	v_sqrt_f32_e32 v34, v32
	v_add_nc_u32_e32 v35, -1, v34
	v_add_nc_u32_e32 v43, 1, v34
	v_fma_f32 v44, -v35, v34, v32
	v_fma_f32 v45, -v43, v34, v32
	v_cmp_ge_f32_e64 s2, 0, v44
	v_cndmask_b32_e64 v34, v34, v35, s2
	v_cmp_lt_f32_e64 s2, 0, v45
	v_cndmask_b32_e64 v34, v34, v43, s2
	v_mul_f32_e32 v35, 0x37800000, v34
	v_cndmask_b32_e32 v34, v34, v35, vcc_lo
	v_cmp_class_f32_e64 vcc_lo, v32, 0x260
	v_cndmask_b32_e32 v32, v34, v32, vcc_lo
	v_div_scale_f32 v34, null, v32, v32, 1.0
	v_rcp_f32_e32 v35, v34
	v_fma_f32 v43, -v34, v35, 1.0
	v_fmac_f32_e32 v35, v43, v35
	v_div_scale_f32 v43, vcc_lo, 1.0, v32, 1.0
	v_mul_f32_e32 v44, v43, v35
	v_fma_f32 v45, -v34, v44, v43
	v_fmac_f32_e32 v44, v45, v35
	v_fma_f32 v34, -v34, v44, v43
	v_div_fmas_f32 v34, v34, v35, v44
	v_div_fixup_f32 v32, v34, v32, 1.0
	v_mul_f32_e32 v33, v33, v32
.LBB17_99:                              ;   in Loop: Header=BB17_95 Depth=3
	s_andn2_saveexec_b32 s64, s64
	s_cbranch_execz .LBB17_101
; %bb.100:                              ;   in Loop: Header=BB17_95 Depth=3
	v_div_scale_f32 v32, null, v31, v31, -v20
	v_div_scale_f32 v35, vcc_lo, -v20, v31, -v20
	v_rcp_f32_e32 v33, v32
	v_fma_f32 v34, -v32, v33, 1.0
	v_fmac_f32_e32 v33, v34, v33
	v_mul_f32_e32 v34, v35, v33
	v_fma_f32 v43, -v32, v34, v35
	v_fmac_f32_e32 v34, v43, v33
	v_fma_f32 v32, -v32, v34, v35
	v_div_fmas_f32 v32, v32, v33, v34
	v_div_fixup_f32 v32, v32, v31, -v20
	v_fma_f32 v33, v32, v32, 1.0
	v_mul_f32_e32 v34, 0x4f800000, v33
	v_cmp_gt_f32_e32 vcc_lo, 0xf800000, v33
	v_cndmask_b32_e32 v33, v33, v34, vcc_lo
	v_sqrt_f32_e32 v34, v33
	v_add_nc_u32_e32 v35, -1, v34
	v_add_nc_u32_e32 v43, 1, v34
	v_fma_f32 v44, -v35, v34, v33
	v_fma_f32 v45, -v43, v34, v33
	v_cmp_ge_f32_e64 s2, 0, v44
	v_cndmask_b32_e64 v34, v34, v35, s2
	v_cmp_lt_f32_e64 s2, 0, v45
	v_cndmask_b32_e64 v34, v34, v43, s2
	v_mul_f32_e32 v35, 0x37800000, v34
	v_cndmask_b32_e32 v34, v34, v35, vcc_lo
	v_cmp_class_f32_e64 vcc_lo, v33, 0x260
	v_cndmask_b32_e32 v33, v34, v33, vcc_lo
	v_div_scale_f32 v34, null, v33, v33, 1.0
	v_rcp_f32_e32 v35, v34
	v_fma_f32 v43, -v34, v35, 1.0
	v_fmac_f32_e32 v35, v43, v35
	v_div_scale_f32 v43, vcc_lo, 1.0, v33, 1.0
	v_mul_f32_e32 v44, v43, v35
	v_fma_f32 v45, -v34, v44, v43
	v_fmac_f32_e32 v44, v45, v35
	v_fma_f32 v34, -v34, v44, v43
	v_div_fmas_f32 v34, v34, v35, v44
	v_div_fixup_f32 v33, v34, v33, 1.0
	v_mul_f32_e32 v32, v32, v33
.LBB17_101:                             ;   in Loop: Header=BB17_95 Depth=3
	s_or_b32 exec_lo, exec_lo, s64
	v_mul_f32_e32 v31, v31, v33
	v_fma_f32 v34, v20, v32, -v31
.LBB17_102:                             ;   in Loop: Header=BB17_95 Depth=3
	s_andn2_saveexec_b32 s2, s63
; %bb.103:                              ;   in Loop: Header=BB17_95 Depth=3
	v_mov_b32_e32 v32, 0
	v_mov_b32_e32 v33, 1.0
; %bb.104:                              ;   in Loop: Header=BB17_95 Depth=3
	s_or_b32 exec_lo, exec_lo, s2
	v_mov_b32_e32 v20, v34
.LBB17_105:                             ;   in Loop: Header=BB17_95 Depth=3
	s_or_b32 exec_lo, exec_lo, s62
	s_cmp_eq_u32 s61, 0
	s_cbranch_scc1 .LBB17_94
; %bb.106:                              ;   in Loop: Header=BB17_95 Depth=3
	global_store_dword v[25:26], v20, off
	s_branch .LBB17_94
.LBB17_107:                             ;   in Loop: Header=BB17_68 Depth=2
	ds_write2_b32 v36, v19, v15 offset0:1 offset1:4
	s_cbranch_execz .LBB17_80
	s_branch .LBB17_81
.LBB17_108:                             ;   in Loop: Header=BB17_68 Depth=2
	s_or_b32 exec_lo, exec_lo, s60
	ds_write_b32 v36, v29 offset:8
.LBB17_109:                             ;   in Loop: Header=BB17_68 Depth=2
	s_or_b32 exec_lo, exec_lo, s59
	global_load_dword v27, v[16:17], off
.LBB17_110:                             ;   in Loop: Header=BB17_68 Depth=2
	s_or_b32 exec_lo, exec_lo, s58
	s_waitcnt vmcnt(0)
	v_sub_f32_e32 v15, v27, v29
                                        ; implicit-def: $vgpr27
                                        ; implicit-def: $vgpr19
	global_store_dword v[16:17], v15, off
	global_store_dword v[21:22], v20, off offset:-4
                                        ; implicit-def: $vgpr16_vgpr17
                                        ; implicit-def: $vgpr21_vgpr22
                                        ; implicit-def: $vgpr15
.LBB17_111:                             ;   in Loop: Header=BB17_68 Depth=2
	s_andn2_saveexec_b32 s58, s3
	s_cbranch_execz .LBB17_144
; %bb.112:                              ;   in Loop: Header=BB17_68 Depth=2
	v_ashrrev_i32_e32 v20, 31, v19
	s_mov_b32 s3, exec_lo
	v_lshlrev_b64 v[18:19], 2, v[19:20]
	v_add_co_u32 v23, vcc_lo, s10, v18
	v_add_co_ci_u32_e64 v24, null, s33, v19, vcc_lo
	v_add_co_u32 v25, vcc_lo, s18, v18
	v_add_co_ci_u32_e64 v26, null, s19, v19, vcc_lo
	global_load_dword v28, v[23:24], off
	global_load_dword v23, v[25:26], off
                                        ; implicit-def: $vgpr26
	s_waitcnt vmcnt(1)
	v_add_f32_e32 v20, v28, v28
	s_waitcnt vmcnt(0)
	v_sub_f32_e32 v25, v23, v27
	v_and_b32_e32 v24, 0x7fffffff, v20
	v_cmpx_ngt_f32_e64 |v25|, |v20|
	s_xor_b32 s3, exec_lo, s3
	s_cbranch_execz .LBB17_118
; %bb.113:                              ;   in Loop: Header=BB17_68 Depth=2
	v_cmp_nlt_f32_e64 s2, |v25|, |v20|
                                        ; implicit-def: $vgpr26
	s_and_saveexec_b32 s59, s2
	s_xor_b32 s2, exec_lo, s59
	s_cbranch_execz .LBB17_115
; %bb.114:                              ;   in Loop: Header=BB17_68 Depth=2
	v_cvt_f64_f32_e32 v[29:30], v24
                                        ; implicit-def: $vgpr24
	v_mul_f64 v[29:30], v[29:30], s[56:57]
	v_cvt_f32_f64_e32 v26, v[29:30]
.LBB17_115:                             ;   in Loop: Header=BB17_68 Depth=2
	s_andn2_saveexec_b32 s59, s2
	s_cbranch_execz .LBB17_117
; %bb.116:                              ;   in Loop: Header=BB17_68 Depth=2
	v_and_b32_e32 v26, 0x7fffffff, v25
	v_div_scale_f32 v29, null, v24, v24, v26
	v_div_scale_f32 v24, vcc_lo, v26, v24, v26
	v_rcp_f32_e32 v30, v29
	v_fma_f32 v31, -v29, v30, 1.0
	v_fmac_f32_e32 v30, v31, v30
	v_mul_f32_e32 v26, v24, v30
	v_fma_f32 v31, -v29, v26, v24
	v_fmac_f32_e32 v26, v31, v30
	v_fma_f32 v24, -v29, v26, v24
	v_div_fmas_f32 v24, v24, v30, v26
	v_div_fixup_f32 v24, v24, |v20|, |v25|
	v_fma_f32 v24, v24, v24, 1.0
	v_mul_f32_e32 v26, 0x4f800000, v24
	v_cmp_gt_f32_e32 vcc_lo, 0xf800000, v24
	v_cndmask_b32_e32 v24, v24, v26, vcc_lo
	v_sqrt_f32_e32 v26, v24
	v_add_nc_u32_e32 v29, -1, v26
	v_add_nc_u32_e32 v30, 1, v26
	v_fma_f32 v31, -v29, v26, v24
	v_fma_f32 v32, -v30, v26, v24
	v_cmp_ge_f32_e64 s2, 0, v31
	v_cndmask_b32_e64 v26, v26, v29, s2
	v_cmp_lt_f32_e64 s2, 0, v32
	v_cndmask_b32_e64 v26, v26, v30, s2
	v_mul_f32_e32 v29, 0x37800000, v26
	v_cndmask_b32_e32 v26, v26, v29, vcc_lo
	v_cmp_class_f32_e64 vcc_lo, v24, 0x260
	v_cndmask_b32_e32 v24, v26, v24, vcc_lo
	v_mul_f32_e64 v26, |v20|, v24
.LBB17_117:                             ;   in Loop: Header=BB17_68 Depth=2
	s_or_b32 exec_lo, exec_lo, s59
                                        ; implicit-def: $vgpr24
.LBB17_118:                             ;   in Loop: Header=BB17_68 Depth=2
	s_andn2_saveexec_b32 s3, s3
	s_cbranch_execz .LBB17_120
; %bb.119:                              ;   in Loop: Header=BB17_68 Depth=2
	v_and_b32_e32 v26, 0x7fffffff, v25
	v_div_scale_f32 v29, null, v26, v26, v24
	v_div_scale_f32 v24, vcc_lo, v24, v26, v24
	v_rcp_f32_e32 v30, v29
	v_fma_f32 v31, -v29, v30, 1.0
	v_fmac_f32_e32 v30, v31, v30
	v_mul_f32_e32 v26, v24, v30
	v_fma_f32 v31, -v29, v26, v24
	v_fmac_f32_e32 v26, v31, v30
	v_fma_f32 v24, -v29, v26, v24
	v_div_fmas_f32 v24, v24, v30, v26
	v_div_fixup_f32 v24, v24, |v25|, |v20|
	v_fma_f32 v24, v24, v24, 1.0
	v_mul_f32_e32 v26, 0x4f800000, v24
	v_cmp_gt_f32_e32 vcc_lo, 0xf800000, v24
	v_cndmask_b32_e32 v24, v24, v26, vcc_lo
	v_sqrt_f32_e32 v26, v24
	v_add_nc_u32_e32 v29, -1, v26
	v_add_nc_u32_e32 v30, 1, v26
	v_fma_f32 v31, -v29, v26, v24
	v_fma_f32 v32, -v30, v26, v24
	v_cmp_ge_f32_e64 s2, 0, v31
	v_cndmask_b32_e64 v26, v26, v29, s2
	v_cmp_lt_f32_e64 s2, 0, v32
	v_cndmask_b32_e64 v26, v26, v30, s2
	v_mul_f32_e32 v29, 0x37800000, v26
	v_cndmask_b32_e32 v26, v26, v29, vcc_lo
	v_cmp_class_f32_e64 vcc_lo, v24, 0x260
	v_cndmask_b32_e32 v24, v26, v24, vcc_lo
	v_mul_f32_e64 v26, |v25|, v24
.LBB17_120:                             ;   in Loop: Header=BB17_68 Depth=2
	s_or_b32 exec_lo, exec_lo, s3
	v_cmp_gt_f32_e64 vcc_lo, |v23|, |v27|
	v_add_f32_e32 v30, v27, v23
	s_mov_b32 s2, exec_lo
	v_cndmask_b32_e32 v29, v23, v27, vcc_lo
	v_cndmask_b32_e32 v31, v27, v23, vcc_lo
                                        ; implicit-def: $vgpr24
	v_cmpx_ngt_f32_e32 0, v30
	s_xor_b32 s3, exec_lo, s2
	s_cbranch_execz .LBB17_126
; %bb.121:                              ;   in Loop: Header=BB17_68 Depth=2
	s_mov_b32 s2, exec_lo
                                        ; implicit-def: $vgpr24
	v_cmpx_nlt_f32_e32 0, v30
	s_xor_b32 s2, exec_lo, s2
; %bb.122:                              ;   in Loop: Header=BB17_68 Depth=2
	v_mul_f32_e32 v23, 0.5, v26
	v_mul_f32_e32 v24, -0.5, v26
                                        ; implicit-def: $vgpr30
                                        ; implicit-def: $vgpr31
                                        ; implicit-def: $vgpr29
                                        ; implicit-def: $vgpr28
; %bb.123:                              ;   in Loop: Header=BB17_68 Depth=2
	s_andn2_saveexec_b32 s59, s2
	s_cbranch_execz .LBB17_125
; %bb.124:                              ;   in Loop: Header=BB17_68 Depth=2
	v_add_f32_e32 v23, v30, v26
	v_cvt_f64_f32_e32 v[30:31], v31
	v_cvt_f64_f32_e32 v[27:28], v28
	v_mul_f32_e32 v23, 0.5, v23
	v_cvt_f64_f32_e32 v[32:33], v23
	v_div_scale_f64 v[34:35], null, v[32:33], v[32:33], v[30:31]
	v_div_scale_f64 v[43:44], null, v[32:33], v[32:33], v[27:28]
	v_div_scale_f64 v[53:54], vcc_lo, v[30:31], v[32:33], v[30:31]
	v_rcp_f64_e32 v[45:46], v[34:35]
	v_rcp_f64_e32 v[47:48], v[43:44]
	v_fma_f64 v[49:50], -v[34:35], v[45:46], 1.0
	v_fma_f64 v[51:52], -v[43:44], v[47:48], 1.0
	v_fma_f64 v[45:46], v[45:46], v[49:50], v[45:46]
	v_fma_f64 v[47:48], v[47:48], v[51:52], v[47:48]
	v_fma_f64 v[49:50], -v[34:35], v[45:46], 1.0
	v_fma_f64 v[51:52], -v[43:44], v[47:48], 1.0
	v_fma_f64 v[45:46], v[45:46], v[49:50], v[45:46]
	v_div_scale_f64 v[49:50], s2, v[27:28], v[32:33], v[27:28]
	v_fma_f64 v[47:48], v[47:48], v[51:52], v[47:48]
	v_mul_f64 v[51:52], v[53:54], v[45:46]
	v_mul_f64 v[55:56], v[49:50], v[47:48]
	v_fma_f64 v[34:35], -v[34:35], v[51:52], v[53:54]
	v_fma_f64 v[43:44], -v[43:44], v[55:56], v[49:50]
	v_div_fmas_f64 v[34:35], v[34:35], v[45:46], v[51:52]
	s_mov_b32 vcc_lo, s2
	v_div_fmas_f64 v[43:44], v[43:44], v[47:48], v[55:56]
	v_div_fixup_f64 v[30:31], v[34:35], v[32:33], v[30:31]
	v_div_fixup_f64 v[43:44], v[43:44], v[32:33], v[27:28]
	v_cvt_f64_f32_e32 v[32:33], v29
	v_mul_f64 v[27:28], v[43:44], v[27:28]
	v_fma_f64 v[27:28], v[30:31], v[32:33], -v[27:28]
	v_cvt_f32_f64_e32 v24, v[27:28]
.LBB17_125:                             ;   in Loop: Header=BB17_68 Depth=2
	s_or_b32 exec_lo, exec_lo, s59
                                        ; implicit-def: $vgpr30
                                        ; implicit-def: $vgpr31
                                        ; implicit-def: $vgpr29
                                        ; implicit-def: $vgpr28
.LBB17_126:                             ;   in Loop: Header=BB17_68 Depth=2
	s_or_saveexec_b32 s3, s3
	v_mov_b32_e32 v27, 1
	s_xor_b32 exec_lo, exec_lo, s3
	s_cbranch_execz .LBB17_128
; %bb.127:                              ;   in Loop: Header=BB17_68 Depth=2
	v_sub_f32_e32 v23, v30, v26
	v_cvt_f64_f32_e32 v[30:31], v31
	v_cvt_f64_f32_e32 v[27:28], v28
	v_mul_f32_e32 v23, 0.5, v23
	v_cvt_f64_f32_e32 v[32:33], v23
	v_div_scale_f64 v[34:35], null, v[32:33], v[32:33], v[30:31]
	v_div_scale_f64 v[43:44], null, v[32:33], v[32:33], v[27:28]
	v_div_scale_f64 v[53:54], vcc_lo, v[30:31], v[32:33], v[30:31]
	v_rcp_f64_e32 v[45:46], v[34:35]
	v_rcp_f64_e32 v[47:48], v[43:44]
	v_fma_f64 v[49:50], -v[34:35], v[45:46], 1.0
	v_fma_f64 v[51:52], -v[43:44], v[47:48], 1.0
	v_fma_f64 v[45:46], v[45:46], v[49:50], v[45:46]
	v_fma_f64 v[47:48], v[47:48], v[51:52], v[47:48]
	v_fma_f64 v[49:50], -v[34:35], v[45:46], 1.0
	v_fma_f64 v[51:52], -v[43:44], v[47:48], 1.0
	v_fma_f64 v[45:46], v[45:46], v[49:50], v[45:46]
	v_div_scale_f64 v[49:50], s2, v[27:28], v[32:33], v[27:28]
	v_fma_f64 v[47:48], v[47:48], v[51:52], v[47:48]
	v_mul_f64 v[51:52], v[53:54], v[45:46]
	v_mul_f64 v[55:56], v[49:50], v[47:48]
	v_fma_f64 v[34:35], -v[34:35], v[51:52], v[53:54]
	v_fma_f64 v[43:44], -v[43:44], v[55:56], v[49:50]
	v_div_fmas_f64 v[34:35], v[34:35], v[45:46], v[51:52]
	s_mov_b32 vcc_lo, s2
	v_div_fmas_f64 v[43:44], v[43:44], v[47:48], v[55:56]
	v_div_fixup_f64 v[30:31], v[34:35], v[32:33], v[30:31]
	v_div_fixup_f64 v[43:44], v[43:44], v[32:33], v[27:28]
	v_cvt_f64_f32_e32 v[32:33], v29
	v_mul_f64 v[27:28], v[43:44], v[27:28]
	v_fma_f64 v[27:28], v[30:31], v[32:33], -v[27:28]
	v_cvt_f32_f64_e32 v24, v[27:28]
	v_mov_b32_e32 v27, -1
.LBB17_128:                             ;   in Loop: Header=BB17_68 Depth=2
	s_or_b32 exec_lo, exec_lo, s3
	v_cmp_nle_f32_e64 s2, 0, v25
	s_mov_b32 s59, exec_lo
                                        ; implicit-def: $vgpr28
	v_cndmask_b32_e64 v26, v26, -v26, s2
	v_add_f32_e32 v25, v25, v26
                                        ; implicit-def: $vgpr26
	v_cmpx_ngt_f32_e64 |v25|, |v20|
	s_xor_b32 s59, exec_lo, s59
	s_cbranch_execz .LBB17_132
; %bb.129:                              ;   in Loop: Header=BB17_68 Depth=2
	v_mov_b32_e32 v26, 0
	v_mov_b32_e32 v28, 1.0
	s_mov_b32 s60, exec_lo
	v_cmpx_neq_f32_e32 0, v20
	s_cbranch_execz .LBB17_131
; %bb.130:                              ;   in Loop: Header=BB17_68 Depth=2
	v_div_scale_f32 v26, null, v20, v20, -v25
	v_div_scale_f32 v30, vcc_lo, -v25, v20, -v25
	v_rcp_f32_e32 v28, v26
	v_fma_f32 v29, -v26, v28, 1.0
	v_fmac_f32_e32 v28, v29, v28
	v_mul_f32_e32 v29, v30, v28
	v_fma_f32 v31, -v26, v29, v30
	v_fmac_f32_e32 v29, v31, v28
	v_fma_f32 v26, -v26, v29, v30
	v_div_fmas_f32 v26, v26, v28, v29
	v_div_fixup_f32 v20, v26, v20, -v25
	v_fma_f32 v25, v20, v20, 1.0
	v_mul_f32_e32 v26, 0x4f800000, v25
	v_cmp_gt_f32_e32 vcc_lo, 0xf800000, v25
	v_cndmask_b32_e32 v25, v25, v26, vcc_lo
	v_sqrt_f32_e32 v26, v25
	v_add_nc_u32_e32 v28, -1, v26
	v_add_nc_u32_e32 v29, 1, v26
	v_fma_f32 v30, -v28, v26, v25
	v_fma_f32 v31, -v29, v26, v25
	v_cmp_ge_f32_e64 s3, 0, v30
	v_cndmask_b32_e64 v26, v26, v28, s3
	v_cmp_lt_f32_e64 s3, 0, v31
	v_cndmask_b32_e64 v26, v26, v29, s3
	v_mul_f32_e32 v28, 0x37800000, v26
	v_cndmask_b32_e32 v26, v26, v28, vcc_lo
	v_cmp_class_f32_e64 vcc_lo, v25, 0x260
	v_cndmask_b32_e32 v25, v26, v25, vcc_lo
	v_div_scale_f32 v26, null, v25, v25, 1.0
	v_rcp_f32_e32 v28, v26
	v_fma_f32 v29, -v26, v28, 1.0
	v_fmac_f32_e32 v28, v29, v28
	v_div_scale_f32 v29, vcc_lo, 1.0, v25, 1.0
	v_mul_f32_e32 v30, v29, v28
	v_fma_f32 v31, -v26, v30, v29
	v_fmac_f32_e32 v30, v31, v28
	v_fma_f32 v26, -v26, v30, v29
	v_div_fmas_f32 v26, v26, v28, v30
	v_div_fixup_f32 v28, v26, v25, 1.0
	v_mul_f32_e32 v26, v20, v28
.LBB17_131:                             ;   in Loop: Header=BB17_68 Depth=2
	s_or_b32 exec_lo, exec_lo, s60
                                        ; implicit-def: $vgpr25
                                        ; implicit-def: $vgpr20
.LBB17_132:                             ;   in Loop: Header=BB17_68 Depth=2
	s_andn2_saveexec_b32 s59, s59
	s_cbranch_execz .LBB17_134
; %bb.133:                              ;   in Loop: Header=BB17_68 Depth=2
	v_div_scale_f32 v26, null, v25, v25, -v20
	v_div_scale_f32 v30, vcc_lo, -v20, v25, -v20
	v_rcp_f32_e32 v28, v26
	v_fma_f32 v29, -v26, v28, 1.0
	v_fmac_f32_e32 v28, v29, v28
	v_mul_f32_e32 v29, v30, v28
	v_fma_f32 v31, -v26, v29, v30
	v_fmac_f32_e32 v29, v31, v28
	v_fma_f32 v26, -v26, v29, v30
	v_div_fmas_f32 v26, v26, v28, v29
	v_div_fixup_f32 v20, v26, v25, -v20
	v_fma_f32 v25, v20, v20, 1.0
	v_mul_f32_e32 v26, 0x4f800000, v25
	v_cmp_gt_f32_e32 vcc_lo, 0xf800000, v25
	v_cndmask_b32_e32 v25, v25, v26, vcc_lo
	v_sqrt_f32_e32 v26, v25
	v_add_nc_u32_e32 v28, -1, v26
	v_add_nc_u32_e32 v29, 1, v26
	v_fma_f32 v30, -v28, v26, v25
	v_fma_f32 v31, -v29, v26, v25
	v_cmp_ge_f32_e64 s3, 0, v30
	v_cndmask_b32_e64 v26, v26, v28, s3
	v_cmp_lt_f32_e64 s3, 0, v31
	v_cndmask_b32_e64 v26, v26, v29, s3
	v_mul_f32_e32 v28, 0x37800000, v26
	v_cndmask_b32_e32 v26, v26, v28, vcc_lo
	v_cmp_class_f32_e64 vcc_lo, v25, 0x260
	v_cndmask_b32_e32 v25, v26, v25, vcc_lo
	v_div_scale_f32 v26, null, v25, v25, 1.0
	v_rcp_f32_e32 v28, v26
	v_fma_f32 v29, -v26, v28, 1.0
	v_fmac_f32_e32 v28, v29, v28
	v_div_scale_f32 v29, vcc_lo, 1.0, v25, 1.0
	v_mul_f32_e32 v30, v29, v28
	v_fma_f32 v31, -v26, v30, v29
	v_fmac_f32_e32 v30, v31, v28
	v_fma_f32 v26, -v26, v30, v29
	v_div_fmas_f32 v26, v26, v28, v30
	v_div_fixup_f32 v26, v26, v25, 1.0
	v_mul_f32_e32 v28, v20, v26
.LBB17_134:                             ;   in Loop: Header=BB17_68 Depth=2
	s_or_b32 exec_lo, exec_lo, s59
	v_cndmask_b32_e64 v20, 1, -1, s2
	v_add_co_u32 v18, s2, s70, v18
	v_add_co_ci_u32_e64 v19, null, s71, v19, s2
	v_cmp_eq_u32_e32 vcc_lo, v27, v20
	v_add_nc_u32_e32 v15, -2, v15
	v_cndmask_b32_e64 v27, v28, -v26, vcc_lo
	v_cndmask_b32_e32 v28, v26, v28, vcc_lo
	v_add_co_u32 v25, vcc_lo, v18, s42
	v_add_co_ci_u32_e64 v26, null, s43, v19, vcc_lo
	v_add_co_u32 v20, vcc_lo, s10, v21
	v_add_co_ci_u32_e64 v21, null, s33, v22, vcc_lo
	global_store_dword v[18:19], v27, off
	global_store_dword v[25:26], v28, off offset:-4
	global_store_dwordx2 v[16:17], v[23:24], off offset:-4
	global_store_dword v[20:21], v36, off offset:-4
	ds_write_b32 v36, v15
	s_or_b32 exec_lo, exec_lo, s58
                                        ; implicit-def: $vgpr20
.LBB17_135:                             ;   in Loop: Header=BB17_68 Depth=2
	s_andn2_saveexec_b32 s2, s37
.LBB17_136:                             ;   in Loop: Header=BB17_68 Depth=2
	ds_write_b32 v36, v20
.LBB17_137:                             ;   in Loop: Header=BB17_68 Depth=2
	s_or_b32 exec_lo, exec_lo, s2
.LBB17_138:                             ;   in Loop: Header=BB17_68 Depth=2
	s_or_b32 exec_lo, exec_lo, s4
	s_waitcnt lgkmcnt(0)
	s_waitcnt_vscnt null, 0x0
	s_barrier
	buffer_gl0_inv
	ds_read_b64 v[15:16], v36
	s_waitcnt lgkmcnt(0)
	v_readfirstlane_b32 s2, v16
	v_cmp_eq_u32_e32 vcc_lo, s2, v15
	v_mov_b32_e32 v15, s2
	s_cbranch_vccnz .LBB17_67
; %bb.139:                              ;   in Loop: Header=BB17_68 Depth=2
	s_and_saveexec_b32 s4, s1
	s_cbranch_execz .LBB17_66
; %bb.140:                              ;   in Loop: Header=BB17_68 Depth=2
	ds_read_b32 v15, v36 offset:16
	s_ashr_i32 s3, s2, 31
	s_mul_i32 s60, s2, s11
	s_lshl_b64 s[58:59], s[2:3], 2
	v_mov_b32_e32 v17, v0
	s_waitcnt lgkmcnt(0)
	v_readfirstlane_b32 s37, v15
	s_sub_i32 s37, s37, s2
	s_add_u32 s58, s70, s58
	s_addc_u32 s59, s71, s59
	s_ashr_i32 s61, s60, 31
	s_mul_hi_i32 s3, s37, s40
	s_lshl_b64 s[62:63], s[60:61], 3
	s_mul_i32 s2, s37, s40
	s_add_u32 s60, s68, s62
	s_addc_u32 s61, s69, s63
	s_cmp_gt_i32 s37, 0
	v_add_co_u32 v15, vcc_lo, v38, s62
	v_add_co_ci_u32_e64 v16, null, s63, v39, vcc_lo
	s_cselect_b32 s62, -1, 0
	s_lshl_b64 s[2:3], s[2:3], 3
	s_mov_b32 s63, 0
	s_add_u32 s64, s60, s2
	s_addc_u32 s65, s61, s3
	s_branch .LBB17_142
.LBB17_141:                             ;   in Loop: Header=BB17_142 Depth=3
	v_add_nc_u32_e32 v17, s30, v17
	v_add_co_u32 v18, vcc_lo, s64, v18
	v_add_co_ci_u32_e64 v19, null, s65, v19, vcc_lo
	v_cmp_le_i32_e32 vcc_lo, s6, v17
	v_add_co_u32 v15, s2, v15, s54
	v_add_co_ci_u32_e64 v16, null, s55, v16, s2
	s_or_b32 s63, vcc_lo, s63
	s_waitcnt vmcnt(0)
	global_store_dwordx2 v[18:19], v[20:21], off
	s_andn2_b32 exec_lo, exec_lo, s63
	s_cbranch_execz .LBB17_66
.LBB17_142:                             ;   Parent Loop BB17_7 Depth=1
                                        ;     Parent Loop BB17_68 Depth=2
                                        ; =>    This Loop Header: Depth=3
                                        ;         Child Loop BB17_143 Depth 4
	v_ashrrev_i32_e32 v18, 31, v17
	v_mov_b32_e32 v23, v16
	v_mov_b32_e32 v22, v15
	s_mov_b64 s[2:3], s[58:59]
	s_mov_b32 s66, s37
	v_lshlrev_b64 v[18:19], 3, v[17:18]
	v_add_co_u32 v20, vcc_lo, s60, v18
	v_add_co_ci_u32_e64 v21, null, s61, v19, vcc_lo
	s_andn2_b32 vcc_lo, exec_lo, s62
	global_load_dwordx2 v[20:21], v[20:21], off
	s_cbranch_vccnz .LBB17_141
	.p2align	6
.LBB17_143:                             ;   Parent Loop BB17_7 Depth=1
                                        ;     Parent Loop BB17_68 Depth=2
                                        ;       Parent Loop BB17_142 Depth=3
                                        ; =>      This Inner Loop Header: Depth=4
	v_add_co_u32 v24, vcc_lo, v22, s52
	v_add_co_ci_u32_e64 v25, null, s53, v23, vcc_lo
	s_add_u32 s80, s2, s7
	s_addc_u32 s81, s3, s76
	s_add_i32 s66, s66, -1
	global_load_dwordx2 v[26:27], v[24:25], off offset:-4
	s_clause 0x1
	global_load_dword v30, v36, s[80:81]
	global_load_dword v31, v36, s[2:3]
	s_add_u32 s2, s2, 4
	s_addc_u32 s3, s3, 0
	s_cmp_eq_u32 s66, 0
	s_waitcnt vmcnt(1)
	v_mul_f32_e32 v28, v30, v26
	v_mul_f32_e32 v29, v30, v27
	;; [unrolled: 1-line block ×4, first 2 shown]
	s_waitcnt vmcnt(0)
	v_fmac_f32_e32 v28, v20, v31
	v_fmac_f32_e32 v29, v21, v31
	v_fma_f32 v20, v31, v26, -v32
	v_fma_f32 v21, v31, v27, -v30
	global_store_dwordx2 v[22:23], v[28:29], off offset:-4
	v_mov_b32_e32 v22, v24
	v_mov_b32_e32 v23, v25
	s_cbranch_scc0 .LBB17_143
	s_branch .LBB17_141
.LBB17_144:                             ;   in Loop: Header=BB17_68 Depth=2
	s_or_b32 exec_lo, exec_lo, s58
                                        ; implicit-def: $vgpr20
	s_andn2_saveexec_b32 s2, s37
	s_cbranch_execnz .LBB17_136
	s_branch .LBB17_137
.LBB17_145:                             ;   in Loop: Header=BB17_147 Depth=2
	s_or_b32 exec_lo, exec_lo, s37
	s_waitcnt_vscnt null, 0x0
	s_barrier
	buffer_gl0_inv
	ds_read_b32 v23, v36
.LBB17_146:                             ;   in Loop: Header=BB17_147 Depth=2
	ds_read2_b32 v[29:30], v36 offset0:5 offset1:7
	s_waitcnt lgkmcnt(0)
	v_cmp_le_i32_e32 vcc_lo, v23, v29
	v_cmp_gt_i32_e64 s3, s24, v30
	s_and_b32 s3, vcc_lo, s3
	s_andn2_b32 vcc_lo, exec_lo, s3
	s_cbranch_vccnz .LBB17_50
.LBB17_147:                             ;   Parent Loop BB17_7 Depth=1
                                        ; =>  This Loop Header: Depth=2
                                        ;       Child Loop BB17_153 Depth 3
                                        ;       Child Loop BB17_173 Depth 3
	;; [unrolled: 1-line block ×3, first 2 shown]
                                        ;         Child Loop BB17_221 Depth 4
	s_and_saveexec_b32 s37, s0
	s_cbranch_execz .LBB17_216
; %bb.148:                              ;   in Loop: Header=BB17_147 Depth=2
	v_cmp_lt_i32_e32 vcc_lo, v23, v29
	s_mov_b32 s3, 0
	s_cbranch_vccnz .LBB17_150
; %bb.149:                              ;   in Loop: Header=BB17_147 Depth=2
	v_ashrrev_i32_e32 v24, 31, v23
	s_mov_b32 s4, -1
	v_mov_b32_e32 v25, v24
	v_mov_b32_e32 v24, v23
	;; [unrolled: 1-line block ×3, first 2 shown]
	s_cbranch_execz .LBB17_151
	s_branch .LBB17_156
.LBB17_150:                             ;   in Loop: Header=BB17_147 Depth=2
	s_mov_b32 s4, 0
                                        ; implicit-def: $vgpr24_vgpr25
	v_mov_b32_e32 v26, v23
.LBB17_151:                             ;   in Loop: Header=BB17_147 Depth=2
	v_ashrrev_i32_e32 v24, 31, v23
	v_mov_b32_e32 v27, v23
	v_lshlrev_b64 v[19:20], 2, v[23:24]
	v_add_co_u32 v25, vcc_lo, s10, v19
	v_add_co_ci_u32_e64 v26, null, s33, v20, vcc_lo
	v_add_co_u32 v21, vcc_lo, s72, v19
	v_add_co_ci_u32_e64 v22, null, s73, v20, vcc_lo
	s_branch .LBB17_153
	.p2align	6
.LBB17_152:                             ;   in Loop: Header=BB17_153 Depth=3
	v_add_nc_u32_e32 v27, 1, v16
	v_add_co_u32 v25, vcc_lo, v19, 4
	v_add_co_ci_u32_e64 v26, null, 0, v20, vcc_lo
	v_add_co_u32 v21, vcc_lo, v21, 4
	v_add_co_ci_u32_e64 v22, null, 0, v22, vcc_lo
	v_cmp_ge_i32_e64 s4, v27, v29
	s_mov_b32 s3, 0
	s_andn2_b32 vcc_lo, exec_lo, s4
	s_cbranch_vccz .LBB17_155
.LBB17_153:                             ;   Parent Loop BB17_7 Depth=1
                                        ;     Parent Loop BB17_147 Depth=2
                                        ; =>    This Inner Loop Header: Depth=3
	v_mov_b32_e32 v19, v25
	v_mov_b32_e32 v20, v26
	global_load_dwordx2 v[25:26], v[21:22], off
	global_load_dword v16, v[19:20], off
	s_waitcnt vmcnt(1)
	v_mul_f32_e32 v25, v25, v26
	s_waitcnt vmcnt(0)
	v_mul_f32_e32 v16, v16, v16
	v_mul_f32_e64 v25, v37, |v25|
	v_cmp_le_f32_e64 s3, |v16|, v25
	v_mov_b32_e32 v16, v27
	s_and_b32 vcc_lo, exec_lo, s3
	s_cbranch_vccz .LBB17_152
; %bb.154:                              ;   in Loop: Header=BB17_147 Depth=2
	s_mov_b32 s3, -1
                                        ; implicit-def: $vgpr27
                                        ; implicit-def: $vgpr25_vgpr26
                                        ; implicit-def: $vgpr21_vgpr22
.LBB17_155:                             ;   in Loop: Header=BB17_147 Depth=2
	v_mov_b32_e32 v21, v23
	v_mov_b32_e32 v22, v24
	;; [unrolled: 1-line block ×5, first 2 shown]
	s_xor_b32 s4, s3, -1
	s_mov_b32 s3, -1
.LBB17_156:                             ;   in Loop: Header=BB17_147 Depth=2
	s_and_b32 vcc_lo, exec_lo, s4
	s_cbranch_vccnz .LBB17_185
; %bb.157:                              ;   in Loop: Header=BB17_147 Depth=2
	s_andn2_b32 vcc_lo, exec_lo, s3
	s_cbranch_vccnz .LBB17_159
.LBB17_158:                             ;   in Loop: Header=BB17_147 Depth=2
	v_mov_b32_e32 v25, v22
	v_mov_b32_e32 v24, v21
	;; [unrolled: 1-line block ×3, first 2 shown]
	ds_write2_b32 v36, v16, v23 offset0:1 offset1:4
	global_store_dword v[19:20], v36, off
.LBB17_159:                             ;   in Loop: Header=BB17_147 Depth=2
	v_lshlrev_b64 v[28:29], 2, v[24:25]
	v_add_nc_u32_e32 v27, 1, v23
	s_mov_b32 s3, exec_lo
	v_add_co_u32 v24, vcc_lo, s18, v28
	v_add_co_ci_u32_e64 v25, null, s19, v29, vcc_lo
	global_load_dword v43, v[24:25], off
	s_waitcnt vmcnt(0)
	ds_write_b32 v36, v43 offset:8
	v_cmpx_ne_u32_e64 v26, v23
	s_xor_b32 s66, exec_lo, s3
	s_cbranch_execz .LBB17_213
; %bb.160:                              ;   in Loop: Header=BB17_147 Depth=2
	s_mov_b32 s3, exec_lo
	v_cmpx_ne_u32_e64 v26, v27
	s_xor_b32 s4, exec_lo, s3
	s_cbranch_execz .LBB17_189
; %bb.161:                              ;   in Loop: Header=BB17_147 Depth=2
	v_add_co_u32 v28, vcc_lo, s10, v28
	v_add_co_ci_u32_e64 v29, null, s33, v29, vcc_lo
	v_ashrrev_i32_e32 v27, 31, v26
	v_add_nc_u32_e32 v30, 1, v30
	global_load_dword v35, v[24:25], off offset:4
	global_load_dword v44, v[28:29], off
	s_mov_b32 s67, exec_lo
	v_lshlrev_b64 v[33:34], 2, v[26:27]
	ds_write2_b32 v36, v36, v30 offset0:2 offset1:7
	v_add_co_u32 v31, vcc_lo, s18, v33
	v_add_co_ci_u32_e64 v32, null, s19, v34, vcc_lo
	global_load_dword v45, v[31:32], off
	s_waitcnt vmcnt(2)
	v_sub_f32_e32 v27, v35, v43
	s_waitcnt vmcnt(1)
	v_add_f32_e32 v35, v44, v44
	v_div_scale_f32 v46, null, v35, v35, v27
	v_div_scale_f32 v49, vcc_lo, v27, v35, v27
	v_rcp_f32_e32 v47, v46
	v_fma_f32 v48, -v46, v47, 1.0
	v_fmac_f32_e32 v47, v48, v47
	v_mul_f32_e32 v48, v49, v47
	v_fma_f32 v50, -v46, v48, v49
	v_fmac_f32_e32 v48, v50, v47
	v_fma_f32 v46, -v46, v48, v49
	v_div_fmas_f32 v46, v46, v47, v48
	v_div_fixup_f32 v27, v46, v35, v27
	v_fma_f32 v35, v27, v27, 1.0
	v_mul_f32_e32 v46, 0x4f800000, v35
	v_cmp_gt_f32_e32 vcc_lo, 0xf800000, v35
	v_cndmask_b32_e32 v35, v35, v46, vcc_lo
	v_sqrt_f32_e32 v46, v35
	v_add_nc_u32_e32 v47, -1, v46
	v_add_nc_u32_e32 v48, 1, v46
	v_fma_f32 v49, -v47, v46, v35
	v_fma_f32 v50, -v48, v46, v35
	v_cmp_ge_f32_e64 s3, 0, v49
	v_cndmask_b32_e64 v46, v46, v47, s3
	v_cmp_lt_f32_e64 s3, 0, v50
	v_cndmask_b32_e64 v46, v46, v48, s3
	v_mul_f32_e32 v47, 0x37800000, v46
	v_cndmask_b32_e32 v46, v46, v47, vcc_lo
	v_cmp_class_f32_e64 vcc_lo, v35, 0x260
	v_cndmask_b32_e32 v35, v46, v35, vcc_lo
	v_cmp_nle_f32_e32 vcc_lo, 0, v27
	v_cndmask_b32_e64 v35, |v35|, -|v35|, vcc_lo
	v_add_f32_e32 v27, v27, v35
	v_div_scale_f32 v35, null, v27, v27, v44
	v_div_scale_f32 v48, vcc_lo, v44, v27, v44
	v_rcp_f32_e32 v46, v35
	v_fma_f32 v47, -v35, v46, 1.0
	v_fmac_f32_e32 v46, v47, v46
	v_mul_f32_e32 v47, v48, v46
	v_fma_f32 v49, -v35, v47, v48
	v_fmac_f32_e32 v47, v49, v46
	v_fma_f32 v35, -v35, v47, v48
	v_div_fmas_f32 v35, v35, v46, v47
	s_waitcnt vmcnt(0)
	v_sub_f32_e32 v46, v45, v43
	v_div_fixup_f32 v27, v35, v27, v44
	v_mov_b32_e32 v44, 0
	v_add_f32_e32 v35, v46, v27
	v_cmpx_gt_i32_e64 v26, v23
	s_cbranch_execz .LBB17_188
; %bb.162:                              ;   in Loop: Header=BB17_147 Depth=2
	v_add_co_u32 v43, vcc_lo, s10, v33
	v_add_co_ci_u32_e64 v44, null, s33, v34, vcc_lo
	v_mov_b32_e32 v46, 0
	v_mov_b32_e32 v27, 1.0
	s_mov_b32 s58, exec_lo
	global_load_dword v43, v[43:44], off offset:-4
	s_waitcnt vmcnt(0)
	v_cmpx_neq_f32_e32 0, v43
	s_cbranch_execz .LBB17_170
; %bb.163:                              ;   in Loop: Header=BB17_147 Depth=2
	v_mov_b32_e32 v27, 0
	v_mov_b32_e32 v46, 1.0
	s_mov_b32 s59, exec_lo
	v_cmpx_neq_f32_e32 0, v35
	s_cbranch_execz .LBB17_169
; %bb.164:                              ;   in Loop: Header=BB17_147 Depth=2
	s_mov_b32 s60, exec_lo
                                        ; implicit-def: $vgpr46
                                        ; implicit-def: $vgpr27
	v_cmpx_ngt_f32_e64 |v43|, |v35|
	s_xor_b32 s60, exec_lo, s60
	s_cbranch_execz .LBB17_166
; %bb.165:                              ;   in Loop: Header=BB17_147 Depth=2
	v_div_scale_f32 v27, null, v35, v35, -v43
	v_div_scale_f32 v46, vcc_lo, -v43, v35, -v43
	v_rcp_f32_e32 v30, v27
	v_fma_f32 v44, -v27, v30, 1.0
	v_fmac_f32_e32 v30, v44, v30
	v_mul_f32_e32 v44, v46, v30
	v_fma_f32 v47, -v27, v44, v46
	v_fmac_f32_e32 v44, v47, v30
	v_fma_f32 v27, -v27, v44, v46
	v_div_fmas_f32 v27, v27, v30, v44
	v_div_fixup_f32 v30, v27, v35, -v43
	v_fma_f32 v27, v30, v30, 1.0
	v_mul_f32_e32 v35, 0x4f800000, v27
	v_cmp_gt_f32_e32 vcc_lo, 0xf800000, v27
	v_cndmask_b32_e32 v27, v27, v35, vcc_lo
	v_sqrt_f32_e32 v35, v27
	v_add_nc_u32_e32 v44, -1, v35
	v_add_nc_u32_e32 v46, 1, v35
	v_fma_f32 v47, -v44, v35, v27
	v_fma_f32 v48, -v46, v35, v27
	v_cmp_ge_f32_e64 s3, 0, v47
	v_cndmask_b32_e64 v35, v35, v44, s3
	v_cmp_lt_f32_e64 s3, 0, v48
	v_cndmask_b32_e64 v35, v35, v46, s3
	v_mul_f32_e32 v44, 0x37800000, v35
	v_cndmask_b32_e32 v35, v35, v44, vcc_lo
	v_cmp_class_f32_e64 vcc_lo, v27, 0x260
	v_cndmask_b32_e32 v27, v35, v27, vcc_lo
	v_div_scale_f32 v35, null, v27, v27, 1.0
	v_rcp_f32_e32 v44, v35
	v_fma_f32 v46, -v35, v44, 1.0
	v_fmac_f32_e32 v44, v46, v44
	v_div_scale_f32 v46, vcc_lo, 1.0, v27, 1.0
	v_mul_f32_e32 v47, v46, v44
	v_fma_f32 v48, -v35, v47, v46
	v_fmac_f32_e32 v47, v48, v44
	v_fma_f32 v35, -v35, v47, v46
	v_div_fmas_f32 v35, v35, v44, v47
	v_div_fixup_f32 v27, v35, v27, 1.0
                                        ; implicit-def: $vgpr35
	v_mul_f32_e32 v46, v30, v27
.LBB17_166:                             ;   in Loop: Header=BB17_147 Depth=2
	s_andn2_saveexec_b32 s60, s60
	s_cbranch_execz .LBB17_168
; %bb.167:                              ;   in Loop: Header=BB17_147 Depth=2
	v_div_scale_f32 v27, null, v43, v43, -v35
	v_div_scale_f32 v46, vcc_lo, -v35, v43, -v35
	v_rcp_f32_e32 v30, v27
	v_fma_f32 v44, -v27, v30, 1.0
	v_fmac_f32_e32 v30, v44, v30
	v_mul_f32_e32 v44, v46, v30
	v_fma_f32 v47, -v27, v44, v46
	v_fmac_f32_e32 v44, v47, v30
	v_fma_f32 v27, -v27, v44, v46
	v_div_fmas_f32 v27, v27, v30, v44
	v_div_fixup_f32 v27, v27, v43, -v35
	v_fma_f32 v30, v27, v27, 1.0
	v_mul_f32_e32 v35, 0x4f800000, v30
	v_cmp_gt_f32_e32 vcc_lo, 0xf800000, v30
	v_cndmask_b32_e32 v30, v30, v35, vcc_lo
	v_sqrt_f32_e32 v35, v30
	v_add_nc_u32_e32 v44, -1, v35
	v_add_nc_u32_e32 v46, 1, v35
	v_fma_f32 v47, -v44, v35, v30
	v_fma_f32 v48, -v46, v35, v30
	v_cmp_ge_f32_e64 s3, 0, v47
	v_cndmask_b32_e64 v35, v35, v44, s3
	v_cmp_lt_f32_e64 s3, 0, v48
	v_cndmask_b32_e64 v35, v35, v46, s3
	v_mul_f32_e32 v44, 0x37800000, v35
	v_cndmask_b32_e32 v35, v35, v44, vcc_lo
	v_cmp_class_f32_e64 vcc_lo, v30, 0x260
	v_cndmask_b32_e32 v30, v35, v30, vcc_lo
	v_div_scale_f32 v35, null, v30, v30, 1.0
	v_rcp_f32_e32 v44, v35
	v_fma_f32 v46, -v35, v44, 1.0
	v_fmac_f32_e32 v44, v46, v44
	v_div_scale_f32 v46, vcc_lo, 1.0, v30, 1.0
	v_mul_f32_e32 v47, v46, v44
	v_fma_f32 v48, -v35, v47, v46
	v_fmac_f32_e32 v47, v48, v44
	v_fma_f32 v35, -v35, v47, v46
	v_div_fmas_f32 v35, v35, v44, v47
	v_div_fixup_f32 v46, v35, v30, 1.0
	v_mul_f32_e32 v27, v27, v46
.LBB17_168:                             ;   in Loop: Header=BB17_147 Depth=2
	s_or_b32 exec_lo, exec_lo, s60
.LBB17_169:                             ;   in Loop: Header=BB17_147 Depth=2
	s_or_b32 exec_lo, exec_lo, s59
.LBB17_170:                             ;   in Loop: Header=BB17_147 Depth=2
	s_or_b32 exec_lo, exec_lo, s58
	global_load_dword v30, v[31:32], off offset:-4
	v_add_f32_e32 v44, v27, v27
	v_add_co_u32 v33, vcc_lo, s70, v33
	v_add_co_ci_u32_e64 v34, null, s71, v34, vcc_lo
	s_mov_b32 s80, exec_lo
	v_add_co_u32 v47, vcc_lo, v33, -4
	v_add_co_ci_u32_e64 v48, null, -1, v34, vcc_lo
	v_add_co_u32 v47, s3, v47, s42
	v_add_co_ci_u32_e64 v48, null, s43, v48, s3
	s_waitcnt vmcnt(0)
	v_sub_f32_e32 v35, v30, v45
	v_add_nc_u32_e32 v30, -1, v26
	v_mul_f32_e32 v35, v46, v35
	v_fma_f32 v35, v43, v44, -v35
	v_mul_f32_e64 v44, v35, -v46
	v_fma_f32 v45, v35, -v46, v45
	v_fma_f32 v35, v27, v35, -v43
	ds_write_b32 v36, v44 offset:8
	global_store_dword v[31:32], v45, off
	global_store_dword v[33:34], v27, off offset:-4
	global_store_dword v[47:48], v46, off offset:-4
	v_cmpx_gt_i32_e64 v30, v23
	s_cbranch_execz .LBB17_187
; %bb.171:                              ;   in Loop: Header=BB17_147 Depth=2
	v_ashrrev_i32_e32 v31, 31, v30
	v_xor_b32_e32 v45, 0x80000000, v46
	s_mov_b32 s81, -1
	s_mov_b32 s82, 0
	s_mov_b64 s[58:59], s[50:51]
	v_lshlrev_b64 v[30:31], 2, v[30:31]
	s_mov_b64 s[60:61], s[18:19]
	s_mov_b64 s[62:63], s[48:49]
	;; [unrolled: 1-line block ×3, first 2 shown]
	s_branch .LBB17_173
.LBB17_172:                             ;   in Loop: Header=BB17_173 Depth=3
	v_add_co_u32 v32, vcc_lo, s60, v30
	v_add_co_ci_u32_e64 v33, null, s61, v31, vcc_lo
	v_mul_f32_e32 v34, v27, v34
	v_add_f32_e32 v35, v46, v46
	v_xor_b32_e32 v45, 0x80000000, v43
	global_load_dwordx2 v[47:48], v[32:33], off offset:-4
	s_waitcnt vmcnt(0)
	v_sub_f32_e32 v44, v48, v44
	v_add_co_u32 v48, vcc_lo, s62, v30
	v_add_co_ci_u32_e64 v49, null, s63, v31, vcc_lo
	v_sub_f32_e32 v27, v47, v44
	v_add_co_u32 v50, vcc_lo, s64, v30
	s_add_u32 s64, s64, -4
	v_add_co_ci_u32_e64 v51, null, s65, v31, vcc_lo
	s_addc_u32 s65, s65, -1
	s_add_u32 s62, s62, -4
	v_mul_f32_e32 v47, v43, v27
	s_addc_u32 s63, s63, -1
	s_add_i32 s81, s81, -1
	s_add_u32 s60, s60, -4
	v_add_nc_u32_e32 v52, s81, v26
	v_fma_f32 v35, v34, v35, -v47
	v_mov_b32_e32 v27, v46
	s_addc_u32 s61, s61, -1
	s_add_u32 s58, s58, -4
	v_cmp_le_i32_e32 vcc_lo, v52, v23
	v_fma_f32 v47, v35, -v43, v44
	v_mul_f32_e64 v44, v35, -v43
	v_fma_f32 v35, v46, v35, -v34
	s_addc_u32 s59, s59, -1
	s_or_b32 s82, vcc_lo, s82
	global_store_dword v[32:33], v47, off
	global_store_dword v[48:49], v46, off
	;; [unrolled: 1-line block ×3, first 2 shown]
	s_andn2_b32 exec_lo, exec_lo, s82
	s_cbranch_execz .LBB17_186
.LBB17_173:                             ;   Parent Loop BB17_7 Depth=1
                                        ;     Parent Loop BB17_147 Depth=2
                                        ; =>    This Inner Loop Header: Depth=3
	v_add_co_u32 v32, vcc_lo, s58, v30
	v_add_co_ci_u32_e64 v33, null, s59, v31, vcc_lo
	v_mov_b32_e32 v43, 0
	v_mov_b32_e32 v46, 1.0
	s_mov_b32 s83, exec_lo
	global_load_dword v34, v[32:33], off
	s_waitcnt vmcnt(0)
	v_mul_f32_e32 v45, v45, v34
	v_cmpx_neq_f32_e32 0, v45
	s_cbranch_execz .LBB17_183
; %bb.174:                              ;   in Loop: Header=BB17_173 Depth=3
	v_xor_b32_e32 v47, 0x80000000, v45
                                        ; implicit-def: $vgpr43
                                        ; implicit-def: $vgpr46
	s_mov_b32 s3, exec_lo
	v_cmpx_neq_f32_e32 0, v35
	s_xor_b32 s84, exec_lo, s3
	s_cbranch_execz .LBB17_180
; %bb.175:                              ;   in Loop: Header=BB17_173 Depth=3
	s_mov_b32 s85, exec_lo
                                        ; implicit-def: $vgpr43
                                        ; implicit-def: $vgpr46
	v_cmpx_ngt_f32_e64 |v45|, |v35|
	s_xor_b32 s85, exec_lo, s85
	s_cbranch_execz .LBB17_177
; %bb.176:                              ;   in Loop: Header=BB17_173 Depth=3
	v_div_scale_f32 v43, null, v35, v35, -v45
	v_div_scale_f32 v48, vcc_lo, -v45, v35, -v45
	v_rcp_f32_e32 v46, v43
	v_fma_f32 v47, -v43, v46, 1.0
	v_fmac_f32_e32 v46, v47, v46
	v_mul_f32_e32 v47, v48, v46
	v_fma_f32 v49, -v43, v47, v48
	v_fmac_f32_e32 v47, v49, v46
	v_fma_f32 v43, -v43, v47, v48
	v_div_fmas_f32 v43, v43, v46, v47
	v_div_fixup_f32 v43, v43, v35, -v45
	v_fma_f32 v46, v43, v43, 1.0
	v_mul_f32_e32 v47, 0x4f800000, v46
	v_cmp_gt_f32_e32 vcc_lo, 0xf800000, v46
	v_cndmask_b32_e32 v46, v46, v47, vcc_lo
	v_sqrt_f32_e32 v47, v46
	v_add_nc_u32_e32 v48, -1, v47
	v_add_nc_u32_e32 v49, 1, v47
	v_fma_f32 v50, -v48, v47, v46
	v_fma_f32 v51, -v49, v47, v46
	v_cmp_ge_f32_e64 s3, 0, v50
	v_cndmask_b32_e64 v47, v47, v48, s3
	v_cmp_lt_f32_e64 s3, 0, v51
	v_cndmask_b32_e64 v47, v47, v49, s3
	v_mul_f32_e32 v48, 0x37800000, v47
	v_cndmask_b32_e32 v47, v47, v48, vcc_lo
	v_cmp_class_f32_e64 vcc_lo, v46, 0x260
	v_cndmask_b32_e32 v46, v47, v46, vcc_lo
	v_div_scale_f32 v47, null, v46, v46, 1.0
	v_rcp_f32_e32 v48, v47
	v_fma_f32 v49, -v47, v48, 1.0
	v_fmac_f32_e32 v48, v49, v48
	v_div_scale_f32 v49, vcc_lo, 1.0, v46, 1.0
	v_mul_f32_e32 v50, v49, v48
	v_fma_f32 v51, -v47, v50, v49
	v_fmac_f32_e32 v50, v51, v48
	v_fma_f32 v47, -v47, v50, v49
	v_div_fmas_f32 v47, v47, v48, v50
	v_div_fixup_f32 v46, v47, v46, 1.0
	v_mul_f32_e32 v43, v43, v46
.LBB17_177:                             ;   in Loop: Header=BB17_173 Depth=3
	s_andn2_saveexec_b32 s85, s85
	s_cbranch_execz .LBB17_179
; %bb.178:                              ;   in Loop: Header=BB17_173 Depth=3
	v_div_scale_f32 v43, null, v45, v45, -v35
	v_div_scale_f32 v48, vcc_lo, -v35, v45, -v35
	v_rcp_f32_e32 v46, v43
	v_fma_f32 v47, -v43, v46, 1.0
	v_fmac_f32_e32 v46, v47, v46
	v_mul_f32_e32 v47, v48, v46
	v_fma_f32 v49, -v43, v47, v48
	v_fmac_f32_e32 v47, v49, v46
	v_fma_f32 v43, -v43, v47, v48
	v_div_fmas_f32 v43, v43, v46, v47
	v_div_fixup_f32 v46, v43, v45, -v35
	v_fma_f32 v43, v46, v46, 1.0
	v_mul_f32_e32 v47, 0x4f800000, v43
	v_cmp_gt_f32_e32 vcc_lo, 0xf800000, v43
	v_cndmask_b32_e32 v43, v43, v47, vcc_lo
	v_sqrt_f32_e32 v47, v43
	v_add_nc_u32_e32 v48, -1, v47
	v_add_nc_u32_e32 v49, 1, v47
	v_fma_f32 v50, -v48, v47, v43
	v_fma_f32 v51, -v49, v47, v43
	v_cmp_ge_f32_e64 s3, 0, v50
	v_cndmask_b32_e64 v47, v47, v48, s3
	v_cmp_lt_f32_e64 s3, 0, v51
	v_cndmask_b32_e64 v47, v47, v49, s3
	v_mul_f32_e32 v48, 0x37800000, v47
	v_cndmask_b32_e32 v47, v47, v48, vcc_lo
	v_cmp_class_f32_e64 vcc_lo, v43, 0x260
	v_cndmask_b32_e32 v43, v47, v43, vcc_lo
	v_div_scale_f32 v47, null, v43, v43, 1.0
	v_rcp_f32_e32 v48, v47
	v_fma_f32 v49, -v47, v48, 1.0
	v_fmac_f32_e32 v48, v49, v48
	v_div_scale_f32 v49, vcc_lo, 1.0, v43, 1.0
	v_mul_f32_e32 v50, v49, v48
	v_fma_f32 v51, -v47, v50, v49
	v_fmac_f32_e32 v50, v51, v48
	v_fma_f32 v47, -v47, v50, v49
	v_div_fmas_f32 v47, v47, v48, v50
	v_div_fixup_f32 v43, v47, v43, 1.0
	v_mul_f32_e32 v46, v46, v43
.LBB17_179:                             ;   in Loop: Header=BB17_173 Depth=3
	s_or_b32 exec_lo, exec_lo, s85
	v_mul_f32_e32 v45, v45, v43
	v_fma_f32 v47, v35, v46, -v45
.LBB17_180:                             ;   in Loop: Header=BB17_173 Depth=3
	s_andn2_saveexec_b32 s3, s84
; %bb.181:                              ;   in Loop: Header=BB17_173 Depth=3
	v_mov_b32_e32 v46, 0
	v_mov_b32_e32 v43, 1.0
; %bb.182:                              ;   in Loop: Header=BB17_173 Depth=3
	s_or_b32 exec_lo, exec_lo, s3
	v_mov_b32_e32 v35, v47
.LBB17_183:                             ;   in Loop: Header=BB17_173 Depth=3
	s_or_b32 exec_lo, exec_lo, s83
	s_cmp_eq_u32 s81, 0
	s_cbranch_scc1 .LBB17_172
; %bb.184:                              ;   in Loop: Header=BB17_173 Depth=3
	global_store_dword v[32:33], v35, off offset:4
	s_branch .LBB17_172
.LBB17_185:                             ;   in Loop: Header=BB17_147 Depth=2
	ds_write2_b32 v36, v26, v23 offset0:1 offset1:4
	s_cbranch_execz .LBB17_158
	s_branch .LBB17_159
.LBB17_186:                             ;   in Loop: Header=BB17_147 Depth=2
	s_or_b32 exec_lo, exec_lo, s82
	ds_write_b32 v36, v44 offset:8
.LBB17_187:                             ;   in Loop: Header=BB17_147 Depth=2
	s_or_b32 exec_lo, exec_lo, s80
	global_load_dword v43, v[24:25], off
.LBB17_188:                             ;   in Loop: Header=BB17_147 Depth=2
	s_or_b32 exec_lo, exec_lo, s67
	s_waitcnt vmcnt(0)
	v_sub_f32_e32 v23, v43, v44
                                        ; implicit-def: $vgpr43
	global_store_dword v[24:25], v23, off
	global_store_dword v[28:29], v35, off
                                        ; implicit-def: $vgpr28_vgpr29
                                        ; implicit-def: $vgpr24_vgpr25
                                        ; implicit-def: $vgpr23
.LBB17_189:                             ;   in Loop: Header=BB17_147 Depth=2
	s_andn2_saveexec_b32 s58, s4
	s_cbranch_execz .LBB17_222
; %bb.190:                              ;   in Loop: Header=BB17_147 Depth=2
	v_add_co_u32 v26, vcc_lo, s10, v28
	v_add_co_ci_u32_e64 v27, null, s33, v29, vcc_lo
	s_mov_b32 s4, exec_lo
                                        ; implicit-def: $vgpr34
	global_load_dword v35, v[26:27], off
	global_load_dword v30, v[24:25], off offset:4
	s_waitcnt vmcnt(1)
	v_add_f32_e32 v32, v35, v35
	s_waitcnt vmcnt(0)
	v_sub_f32_e32 v33, v43, v30
	v_and_b32_e32 v31, 0x7fffffff, v32
	v_cmpx_ngt_f32_e64 |v33|, |v32|
	s_xor_b32 s4, exec_lo, s4
	s_cbranch_execz .LBB17_196
; %bb.191:                              ;   in Loop: Header=BB17_147 Depth=2
	v_cmp_nlt_f32_e64 s3, |v33|, |v32|
                                        ; implicit-def: $vgpr34
	s_and_saveexec_b32 s59, s3
	s_xor_b32 s3, exec_lo, s59
	s_cbranch_execz .LBB17_193
; %bb.192:                              ;   in Loop: Header=BB17_147 Depth=2
	v_cvt_f64_f32_e32 v[44:45], v31
                                        ; implicit-def: $vgpr31
	v_mul_f64 v[44:45], v[44:45], s[56:57]
	v_cvt_f32_f64_e32 v34, v[44:45]
.LBB17_193:                             ;   in Loop: Header=BB17_147 Depth=2
	s_andn2_saveexec_b32 s59, s3
	s_cbranch_execz .LBB17_195
; %bb.194:                              ;   in Loop: Header=BB17_147 Depth=2
	v_and_b32_e32 v34, 0x7fffffff, v33
	v_div_scale_f32 v44, null, v31, v31, v34
	v_div_scale_f32 v31, vcc_lo, v34, v31, v34
	v_rcp_f32_e32 v45, v44
	v_fma_f32 v46, -v44, v45, 1.0
	v_fmac_f32_e32 v45, v46, v45
	v_mul_f32_e32 v34, v31, v45
	v_fma_f32 v46, -v44, v34, v31
	v_fmac_f32_e32 v34, v46, v45
	v_fma_f32 v31, -v44, v34, v31
	v_div_fmas_f32 v31, v31, v45, v34
	v_div_fixup_f32 v31, v31, |v32|, |v33|
	v_fma_f32 v31, v31, v31, 1.0
	v_mul_f32_e32 v34, 0x4f800000, v31
	v_cmp_gt_f32_e32 vcc_lo, 0xf800000, v31
	v_cndmask_b32_e32 v31, v31, v34, vcc_lo
	v_sqrt_f32_e32 v34, v31
	v_add_nc_u32_e32 v44, -1, v34
	v_add_nc_u32_e32 v45, 1, v34
	v_fma_f32 v46, -v44, v34, v31
	v_fma_f32 v47, -v45, v34, v31
	v_cmp_ge_f32_e64 s3, 0, v46
	v_cndmask_b32_e64 v34, v34, v44, s3
	v_cmp_lt_f32_e64 s3, 0, v47
	v_cndmask_b32_e64 v34, v34, v45, s3
	v_mul_f32_e32 v44, 0x37800000, v34
	v_cndmask_b32_e32 v34, v34, v44, vcc_lo
	v_cmp_class_f32_e64 vcc_lo, v31, 0x260
	v_cndmask_b32_e32 v31, v34, v31, vcc_lo
	v_mul_f32_e64 v34, |v32|, v31
.LBB17_195:                             ;   in Loop: Header=BB17_147 Depth=2
	s_or_b32 exec_lo, exec_lo, s59
                                        ; implicit-def: $vgpr31
.LBB17_196:                             ;   in Loop: Header=BB17_147 Depth=2
	s_andn2_saveexec_b32 s4, s4
	s_cbranch_execz .LBB17_198
; %bb.197:                              ;   in Loop: Header=BB17_147 Depth=2
	v_and_b32_e32 v34, 0x7fffffff, v33
	v_div_scale_f32 v44, null, v34, v34, v31
	v_div_scale_f32 v31, vcc_lo, v31, v34, v31
	v_rcp_f32_e32 v45, v44
	v_fma_f32 v46, -v44, v45, 1.0
	v_fmac_f32_e32 v45, v46, v45
	v_mul_f32_e32 v34, v31, v45
	v_fma_f32 v46, -v44, v34, v31
	v_fmac_f32_e32 v34, v46, v45
	v_fma_f32 v31, -v44, v34, v31
	v_div_fmas_f32 v31, v31, v45, v34
	v_div_fixup_f32 v31, v31, |v33|, |v32|
	v_fma_f32 v31, v31, v31, 1.0
	v_mul_f32_e32 v34, 0x4f800000, v31
	v_cmp_gt_f32_e32 vcc_lo, 0xf800000, v31
	v_cndmask_b32_e32 v31, v31, v34, vcc_lo
	v_sqrt_f32_e32 v34, v31
	v_add_nc_u32_e32 v44, -1, v34
	v_add_nc_u32_e32 v45, 1, v34
	v_fma_f32 v46, -v44, v34, v31
	v_fma_f32 v47, -v45, v34, v31
	v_cmp_ge_f32_e64 s3, 0, v46
	v_cndmask_b32_e64 v34, v34, v44, s3
	v_cmp_lt_f32_e64 s3, 0, v47
	v_cndmask_b32_e64 v34, v34, v45, s3
	v_mul_f32_e32 v44, 0x37800000, v34
	v_cndmask_b32_e32 v34, v34, v44, vcc_lo
	v_cmp_class_f32_e64 vcc_lo, v31, 0x260
	v_cndmask_b32_e32 v31, v34, v31, vcc_lo
	v_mul_f32_e64 v34, |v33|, v31
.LBB17_198:                             ;   in Loop: Header=BB17_147 Depth=2
	s_or_b32 exec_lo, exec_lo, s4
	v_cmp_gt_f32_e64 vcc_lo, |v43|, |v30|
	v_add_f32_e32 v45, v43, v30
	s_mov_b32 s3, exec_lo
	v_cndmask_b32_e32 v44, v43, v30, vcc_lo
	v_cndmask_b32_e32 v46, v30, v43, vcc_lo
                                        ; implicit-def: $vgpr31
	v_cmpx_ngt_f32_e32 0, v45
	s_xor_b32 s3, exec_lo, s3
	s_cbranch_execz .LBB17_204
; %bb.199:                              ;   in Loop: Header=BB17_147 Depth=2
	s_mov_b32 s4, exec_lo
                                        ; implicit-def: $vgpr31
	v_cmpx_nlt_f32_e32 0, v45
	s_xor_b32 s4, exec_lo, s4
; %bb.200:                              ;   in Loop: Header=BB17_147 Depth=2
	v_mul_f32_e32 v30, 0.5, v34
	v_mul_f32_e32 v31, -0.5, v34
                                        ; implicit-def: $vgpr45
                                        ; implicit-def: $vgpr46
                                        ; implicit-def: $vgpr44
                                        ; implicit-def: $vgpr35
; %bb.201:                              ;   in Loop: Header=BB17_147 Depth=2
	s_andn2_saveexec_b32 s4, s4
	s_cbranch_execz .LBB17_203
; %bb.202:                              ;   in Loop: Header=BB17_147 Depth=2
	v_add_f32_e32 v30, v45, v34
	v_cvt_f64_f32_e32 v[45:46], v46
	v_cvt_f64_f32_e32 v[43:44], v44
	v_mul_f32_e32 v30, 0.5, v30
	v_cvt_f64_f32_e32 v[47:48], v30
	v_div_scale_f64 v[49:50], null, v[47:48], v[47:48], v[45:46]
	v_rcp_f64_e32 v[51:52], v[49:50]
	v_fma_f64 v[53:54], -v[49:50], v[51:52], 1.0
	v_fma_f64 v[51:52], v[51:52], v[53:54], v[51:52]
	v_fma_f64 v[53:54], -v[49:50], v[51:52], 1.0
	v_fma_f64 v[51:52], v[51:52], v[53:54], v[51:52]
	v_div_scale_f64 v[53:54], vcc_lo, v[45:46], v[47:48], v[45:46]
	v_mul_f64 v[55:56], v[53:54], v[51:52]
	v_fma_f64 v[49:50], -v[49:50], v[55:56], v[53:54]
	v_div_fmas_f64 v[49:50], v[49:50], v[51:52], v[55:56]
	v_div_fixup_f64 v[45:46], v[49:50], v[47:48], v[45:46]
	v_cvt_f64_f32_e32 v[49:50], v35
	v_div_scale_f64 v[51:52], null, v[47:48], v[47:48], v[49:50]
	v_rcp_f64_e32 v[53:54], v[51:52]
	v_fma_f64 v[55:56], -v[51:52], v[53:54], 1.0
	v_fma_f64 v[53:54], v[53:54], v[55:56], v[53:54]
	v_fma_f64 v[55:56], -v[51:52], v[53:54], 1.0
	v_fma_f64 v[53:54], v[53:54], v[55:56], v[53:54]
	v_div_scale_f64 v[55:56], vcc_lo, v[49:50], v[47:48], v[49:50]
	v_mul_f64 v[57:58], v[55:56], v[53:54]
	v_fma_f64 v[51:52], -v[51:52], v[57:58], v[55:56]
	v_div_fmas_f64 v[51:52], v[51:52], v[53:54], v[57:58]
	v_div_fixup_f64 v[47:48], v[51:52], v[47:48], v[49:50]
	v_mul_f64 v[47:48], v[47:48], v[49:50]
	v_fma_f64 v[43:44], v[45:46], v[43:44], -v[47:48]
	v_cvt_f32_f64_e32 v31, v[43:44]
.LBB17_203:                             ;   in Loop: Header=BB17_147 Depth=2
	s_or_b32 exec_lo, exec_lo, s4
                                        ; implicit-def: $vgpr45
                                        ; implicit-def: $vgpr46
                                        ; implicit-def: $vgpr44
                                        ; implicit-def: $vgpr35
.LBB17_204:                             ;   in Loop: Header=BB17_147 Depth=2
	s_or_saveexec_b32 s3, s3
	v_mov_b32_e32 v43, 1
	s_xor_b32 exec_lo, exec_lo, s3
	s_cbranch_execz .LBB17_206
; %bb.205:                              ;   in Loop: Header=BB17_147 Depth=2
	v_sub_f32_e32 v30, v45, v34
	v_cvt_f64_f32_e32 v[45:46], v46
	v_cvt_f64_f32_e32 v[43:44], v44
	v_mul_f32_e32 v30, 0.5, v30
	v_cvt_f64_f32_e32 v[47:48], v30
	v_div_scale_f64 v[49:50], null, v[47:48], v[47:48], v[45:46]
	v_rcp_f64_e32 v[51:52], v[49:50]
	v_fma_f64 v[53:54], -v[49:50], v[51:52], 1.0
	v_fma_f64 v[51:52], v[51:52], v[53:54], v[51:52]
	v_fma_f64 v[53:54], -v[49:50], v[51:52], 1.0
	v_fma_f64 v[51:52], v[51:52], v[53:54], v[51:52]
	v_div_scale_f64 v[53:54], vcc_lo, v[45:46], v[47:48], v[45:46]
	v_mul_f64 v[55:56], v[53:54], v[51:52]
	v_fma_f64 v[49:50], -v[49:50], v[55:56], v[53:54]
	v_div_fmas_f64 v[49:50], v[49:50], v[51:52], v[55:56]
	v_div_fixup_f64 v[45:46], v[49:50], v[47:48], v[45:46]
	v_cvt_f64_f32_e32 v[49:50], v35
	v_div_scale_f64 v[51:52], null, v[47:48], v[47:48], v[49:50]
	v_rcp_f64_e32 v[53:54], v[51:52]
	v_fma_f64 v[55:56], -v[51:52], v[53:54], 1.0
	v_fma_f64 v[53:54], v[53:54], v[55:56], v[53:54]
	v_fma_f64 v[55:56], -v[51:52], v[53:54], 1.0
	v_fma_f64 v[53:54], v[53:54], v[55:56], v[53:54]
	v_div_scale_f64 v[55:56], vcc_lo, v[49:50], v[47:48], v[49:50]
	v_mul_f64 v[57:58], v[55:56], v[53:54]
	v_fma_f64 v[51:52], -v[51:52], v[57:58], v[55:56]
	v_div_fmas_f64 v[51:52], v[51:52], v[53:54], v[57:58]
	v_div_fixup_f64 v[47:48], v[51:52], v[47:48], v[49:50]
	v_mul_f64 v[47:48], v[47:48], v[49:50]
	v_fma_f64 v[43:44], v[45:46], v[43:44], -v[47:48]
	v_cvt_f32_f64_e32 v31, v[43:44]
	v_mov_b32_e32 v43, -1
.LBB17_206:                             ;   in Loop: Header=BB17_147 Depth=2
	s_or_b32 exec_lo, exec_lo, s3
	v_cmp_nle_f32_e64 s3, 0, v33
	s_mov_b32 s59, exec_lo
                                        ; implicit-def: $vgpr35
	v_cndmask_b32_e64 v34, v34, -v34, s3
	v_add_f32_e32 v33, v33, v34
                                        ; implicit-def: $vgpr34
	v_cmpx_ngt_f32_e64 |v33|, |v32|
	s_xor_b32 s59, exec_lo, s59
	s_cbranch_execz .LBB17_210
; %bb.207:                              ;   in Loop: Header=BB17_147 Depth=2
	v_mov_b32_e32 v34, 0
	v_mov_b32_e32 v35, 1.0
	s_mov_b32 s60, exec_lo
	v_cmpx_neq_f32_e32 0, v32
	s_cbranch_execz .LBB17_209
; %bb.208:                              ;   in Loop: Header=BB17_147 Depth=2
	v_div_scale_f32 v34, null, v32, v32, -v33
	v_div_scale_f32 v45, vcc_lo, -v33, v32, -v33
	v_rcp_f32_e32 v35, v34
	v_fma_f32 v44, -v34, v35, 1.0
	v_fmac_f32_e32 v35, v44, v35
	v_mul_f32_e32 v44, v45, v35
	v_fma_f32 v46, -v34, v44, v45
	v_fmac_f32_e32 v44, v46, v35
	v_fma_f32 v34, -v34, v44, v45
	v_div_fmas_f32 v34, v34, v35, v44
	v_div_fixup_f32 v32, v34, v32, -v33
	v_fma_f32 v33, v32, v32, 1.0
	v_mul_f32_e32 v34, 0x4f800000, v33
	v_cmp_gt_f32_e32 vcc_lo, 0xf800000, v33
	v_cndmask_b32_e32 v33, v33, v34, vcc_lo
	v_sqrt_f32_e32 v34, v33
	v_add_nc_u32_e32 v35, -1, v34
	v_add_nc_u32_e32 v44, 1, v34
	v_fma_f32 v45, -v35, v34, v33
	v_fma_f32 v46, -v44, v34, v33
	v_cmp_ge_f32_e64 s4, 0, v45
	v_cndmask_b32_e64 v34, v34, v35, s4
	v_cmp_lt_f32_e64 s4, 0, v46
	v_cndmask_b32_e64 v34, v34, v44, s4
	v_mul_f32_e32 v35, 0x37800000, v34
	v_cndmask_b32_e32 v34, v34, v35, vcc_lo
	v_cmp_class_f32_e64 vcc_lo, v33, 0x260
	v_cndmask_b32_e32 v33, v34, v33, vcc_lo
	v_div_scale_f32 v34, null, v33, v33, 1.0
	v_rcp_f32_e32 v35, v34
	v_fma_f32 v44, -v34, v35, 1.0
	v_fmac_f32_e32 v35, v44, v35
	v_div_scale_f32 v44, vcc_lo, 1.0, v33, 1.0
	v_mul_f32_e32 v45, v44, v35
	v_fma_f32 v46, -v34, v45, v44
	v_fmac_f32_e32 v45, v46, v35
	v_fma_f32 v34, -v34, v45, v44
	v_div_fmas_f32 v34, v34, v35, v45
	v_div_fixup_f32 v35, v34, v33, 1.0
	v_mul_f32_e32 v34, v32, v35
.LBB17_209:                             ;   in Loop: Header=BB17_147 Depth=2
	s_or_b32 exec_lo, exec_lo, s60
                                        ; implicit-def: $vgpr33
                                        ; implicit-def: $vgpr32
.LBB17_210:                             ;   in Loop: Header=BB17_147 Depth=2
	s_andn2_saveexec_b32 s59, s59
	s_cbranch_execz .LBB17_212
; %bb.211:                              ;   in Loop: Header=BB17_147 Depth=2
	v_div_scale_f32 v34, null, v33, v33, -v32
	v_div_scale_f32 v45, vcc_lo, -v32, v33, -v32
	v_rcp_f32_e32 v35, v34
	v_fma_f32 v44, -v34, v35, 1.0
	v_fmac_f32_e32 v35, v44, v35
	v_mul_f32_e32 v44, v45, v35
	v_fma_f32 v46, -v34, v44, v45
	v_fmac_f32_e32 v44, v46, v35
	v_fma_f32 v34, -v34, v44, v45
	v_div_fmas_f32 v34, v34, v35, v44
	v_div_fixup_f32 v32, v34, v33, -v32
	v_fma_f32 v33, v32, v32, 1.0
	v_mul_f32_e32 v34, 0x4f800000, v33
	v_cmp_gt_f32_e32 vcc_lo, 0xf800000, v33
	v_cndmask_b32_e32 v33, v33, v34, vcc_lo
	v_sqrt_f32_e32 v34, v33
	v_add_nc_u32_e32 v35, -1, v34
	v_add_nc_u32_e32 v44, 1, v34
	v_fma_f32 v45, -v35, v34, v33
	v_fma_f32 v46, -v44, v34, v33
	v_cmp_ge_f32_e64 s4, 0, v45
	v_cndmask_b32_e64 v34, v34, v35, s4
	v_cmp_lt_f32_e64 s4, 0, v46
	v_cndmask_b32_e64 v34, v34, v44, s4
	v_mul_f32_e32 v35, 0x37800000, v34
	v_cndmask_b32_e32 v34, v34, v35, vcc_lo
	v_cmp_class_f32_e64 vcc_lo, v33, 0x260
	v_cndmask_b32_e32 v33, v34, v33, vcc_lo
	v_div_scale_f32 v34, null, v33, v33, 1.0
	v_rcp_f32_e32 v35, v34
	v_fma_f32 v44, -v34, v35, 1.0
	v_fmac_f32_e32 v35, v44, v35
	v_div_scale_f32 v44, vcc_lo, 1.0, v33, 1.0
	v_mul_f32_e32 v45, v44, v35
	v_fma_f32 v46, -v34, v45, v44
	v_fmac_f32_e32 v45, v46, v35
	v_fma_f32 v34, -v34, v45, v44
	v_div_fmas_f32 v34, v34, v35, v45
	v_div_fixup_f32 v34, v34, v33, 1.0
	v_mul_f32_e32 v35, v32, v34
.LBB17_212:                             ;   in Loop: Header=BB17_147 Depth=2
	s_or_b32 exec_lo, exec_lo, s59
	v_cndmask_b32_e64 v32, 1, -1, s3
	v_add_co_u32 v28, s3, s70, v28
	v_add_co_ci_u32_e64 v29, null, s71, v29, s3
	v_cmp_eq_u32_e32 vcc_lo, v43, v32
	v_add_nc_u32_e32 v23, 2, v23
	v_cndmask_b32_e32 v43, v34, v35, vcc_lo
	v_cndmask_b32_e64 v34, v35, -v34, vcc_lo
	v_add_co_u32 v32, vcc_lo, v28, s42
	v_add_co_ci_u32_e64 v33, null, s43, v29, vcc_lo
	global_store_dword v[28:29], v34, off
	global_store_dword v[32:33], v43, off offset:-4
	global_store_dwordx2 v[24:25], v[30:31], off
	global_store_dword v[26:27], v36, off
	ds_write_b32 v36, v23
	s_or_b32 exec_lo, exec_lo, s58
                                        ; implicit-def: $vgpr27
.LBB17_213:                             ;   in Loop: Header=BB17_147 Depth=2
	s_andn2_saveexec_b32 s3, s66
.LBB17_214:                             ;   in Loop: Header=BB17_147 Depth=2
	ds_write_b32 v36, v27
.LBB17_215:                             ;   in Loop: Header=BB17_147 Depth=2
	s_or_b32 exec_lo, exec_lo, s3
.LBB17_216:                             ;   in Loop: Header=BB17_147 Depth=2
	s_or_b32 exec_lo, exec_lo, s37
	s_waitcnt lgkmcnt(0)
	s_waitcnt_vscnt null, 0x0
	s_barrier
	buffer_gl0_inv
	ds_read_b64 v[23:24], v36
	s_waitcnt lgkmcnt(0)
	v_readfirstlane_b32 s3, v24
	v_cmp_eq_u32_e32 vcc_lo, s3, v23
	v_mov_b32_e32 v23, s3
	s_cbranch_vccnz .LBB17_146
; %bb.217:                              ;   in Loop: Header=BB17_147 Depth=2
	s_and_saveexec_b32 s37, s1
	s_cbranch_execz .LBB17_145
; %bb.218:                              ;   in Loop: Header=BB17_147 Depth=2
	ds_read_b32 v23, v36 offset:16
	v_mov_b32_e32 v27, v0
	s_waitcnt lgkmcnt(0)
	v_readfirstlane_b32 s4, v23
	v_ashrrev_i32_e32 v24, 31, v23
	s_mul_i32 s58, s4, s11
	v_lshlrev_b64 v[23:24], 2, v[23:24]
	s_ashr_i32 s59, s58, 31
	s_lshl_b64 s[64:65], s[58:59], 3
	s_add_u32 s58, s68, s64
	s_addc_u32 s59, s69, s65
	s_sub_i32 s60, s3, s4
	s_mul_hi_i32 s63, s60, s40
	s_mul_i32 s62, s60, s40
	s_lshl_b64 s[62:63], s[62:63], 3
	s_add_u32 s61, s58, s62
	s_addc_u32 s62, s59, s63
	s_cmp_gt_i32 s60, 0
	s_cselect_b32 s63, -1, 0
	s_add_i32 s4, s60, -1
	s_lshl_b64 s[66:67], s[4:5], 2
	s_mul_i32 s3, s53, s4
	s_mul_hi_u32 s80, s52, s4
	s_mul_i32 s4, s52, s4
	v_add_co_u32 v25, vcc_lo, v23, s66
	s_add_i32 s80, s80, s3
	s_add_u32 s3, s4, s64
	v_add_co_ci_u32_e64 v26, null, s67, v24, vcc_lo
	s_addc_u32 s4, s80, s65
	v_add_co_u32 v23, vcc_lo, v38, s3
	v_add_co_ci_u32_e64 v24, null, s4, v39, vcc_lo
	v_add_co_u32 v25, vcc_lo, s70, v25
	v_add_co_ci_u32_e64 v26, null, s71, v26, vcc_lo
	s_mov_b32 s4, 0
	s_branch .LBB17_220
.LBB17_219:                             ;   in Loop: Header=BB17_220 Depth=3
	v_add_nc_u32_e32 v27, s30, v27
	v_add_co_u32 v23, s3, v23, s54
	v_add_co_ci_u32_e64 v24, null, s55, v24, s3
	v_cmp_le_i32_e32 vcc_lo, s6, v27
	s_waitcnt vmcnt(0)
	global_store_dwordx2 v[28:29], v[30:31], off
	s_or_b32 s4, vcc_lo, s4
	s_andn2_b32 exec_lo, exec_lo, s4
	s_cbranch_execz .LBB17_145
.LBB17_220:                             ;   Parent Loop BB17_7 Depth=1
                                        ;     Parent Loop BB17_147 Depth=2
                                        ; =>    This Loop Header: Depth=3
                                        ;         Child Loop BB17_221 Depth 4
	v_ashrrev_i32_e32 v28, 31, v27
	v_mov_b32_e32 v33, v24
	v_mov_b32_e32 v35, v26
	;; [unrolled: 1-line block ×4, first 2 shown]
	v_lshlrev_b64 v[28:29], 3, v[27:28]
	s_mov_b32 s3, s60
	v_add_co_u32 v30, vcc_lo, s61, v28
	v_add_co_ci_u32_e64 v31, null, s62, v29, vcc_lo
	v_add_co_u32 v28, vcc_lo, s58, v28
	v_add_co_ci_u32_e64 v29, null, s59, v29, vcc_lo
	global_load_dwordx2 v[30:31], v[30:31], off
	s_andn2_b32 vcc_lo, exec_lo, s63
	s_cbranch_vccnz .LBB17_219
	.p2align	6
.LBB17_221:                             ;   Parent Loop BB17_7 Depth=1
                                        ;     Parent Loop BB17_147 Depth=2
                                        ;       Parent Loop BB17_220 Depth=3
                                        ; =>      This Inner Loop Header: Depth=4
	v_add_co_u32 v43, vcc_lo, v34, s7
	v_add_co_ci_u32_e64 v44, null, s76, v35, vcc_lo
	s_mul_i32 s65, s3, s41
	s_mul_hi_u32 s67, s3, s40
	global_load_dwordx2 v[45:46], v[32:33], off offset:-4
	s_clause 0x1
	global_load_dword v47, v[43:44], off
	global_load_dword v48, v[34:35], off
	s_mul_i32 s64, s3, s40
	v_add_co_u32 v34, vcc_lo, v34, -4
	s_add_i32 s65, s67, s65
	s_waitcnt vmcnt(3)
	v_mov_b32_e32 v49, v31
	v_mov_b32_e32 v50, v30
	v_add_co_ci_u32_e64 v35, null, -1, v35, vcc_lo
	v_add_co_u32 v32, vcc_lo, v32, s31
	s_lshl_b64 s[64:65], s[64:65], 3
	v_add_co_ci_u32_e64 v33, null, s77, v33, vcc_lo
	v_add_co_u32 v43, vcc_lo, v28, s64
	v_add_co_ci_u32_e64 v44, null, s65, v29, vcc_lo
	s_add_i32 s66, s3, -1
	s_cmp_eq_u32 s66, 0
	s_mov_b32 s3, s66
	s_waitcnt vmcnt(0)
	v_mul_f32_e32 v30, v48, v45
	v_mul_f32_e32 v31, v48, v46
	;; [unrolled: 1-line block ×4, first 2 shown]
	v_fmac_f32_e32 v30, v50, v47
	v_fmac_f32_e32 v31, v49, v47
	v_fma_f32 v45, v50, v48, -v45
	v_fma_f32 v46, v49, v48, -v46
	global_store_dwordx2 v[43:44], v[45:46], off
	s_cbranch_scc0 .LBB17_221
	s_branch .LBB17_219
.LBB17_222:                             ;   in Loop: Header=BB17_147 Depth=2
	s_or_b32 exec_lo, exec_lo, s58
                                        ; implicit-def: $vgpr27
	s_andn2_saveexec_b32 s3, s66
	s_cbranch_execnz .LBB17_214
	s_branch .LBB17_215
.LBB17_223:
	s_mov_b32 s7, exec_lo
	v_cmpx_gt_i32_e64 s36, v0
	s_cbranch_execz .LBB17_229
; %bb.224:
	v_ashrrev_i32_e32 v1, 31, v0
	s_lshl_b64 s[2:3], s[28:29], 2
	v_mov_b32_e32 v3, 0
	s_add_u32 s2, s14, s2
	s_addc_u32 s3, s15, s3
	v_lshlrev_b64 v[1:2], 2, v[0:1]
	s_lshl_b64 s[4:5], s[38:39], 2
	s_mov_b32 s10, 0
	s_add_u32 s1, s20, s4
	s_addc_u32 s4, s21, s5
	s_ashr_i32 s31, s30, 31
	v_add_co_u32 v1, vcc_lo, s1, v1
	v_add_co_ci_u32_e64 v2, null, s4, v2, vcc_lo
	s_lshl_b64 s[4:5], s[30:31], 2
	s_inst_prefetch 0x1
	s_branch .LBB17_226
	.p2align	6
.LBB17_225:                             ;   in Loop: Header=BB17_226 Depth=1
	s_or_b32 exec_lo, exec_lo, s1
	v_add_nc_u32_e32 v0, s30, v0
	v_add_co_u32 v1, s1, v1, s4
	v_add_co_ci_u32_e64 v2, null, s5, v2, s1
	v_cmp_le_i32_e32 vcc_lo, s36, v0
	s_or_b32 s10, vcc_lo, s10
	s_andn2_b32 exec_lo, exec_lo, s10
	s_cbranch_execz .LBB17_229
.LBB17_226:                             ; =>This Inner Loop Header: Depth=1
	global_load_dword v4, v[1:2], off
	s_mov_b32 s1, exec_lo
	s_waitcnt vmcnt(0)
	v_cmpx_neq_f32_e32 0, v4
	s_cbranch_execz .LBB17_225
; %bb.227:                              ;   in Loop: Header=BB17_226 Depth=1
	s_mov_b32 s14, exec_lo
	v_mbcnt_lo_u32_b32 v4, s14, 0
	v_cmp_eq_u32_e32 vcc_lo, 0, v4
	s_and_b32 s15, exec_lo, vcc_lo
	s_mov_b32 exec_lo, s15
	s_cbranch_execz .LBB17_225
; %bb.228:                              ;   in Loop: Header=BB17_226 Depth=1
	s_bcnt1_i32_b32 s14, s14
	v_mov_b32_e32 v4, s14
	global_atomic_add v3, v4, s[2:3]
	s_branch .LBB17_225
.LBB17_229:
	s_inst_prefetch 0x2
	s_or_b32 exec_lo, exec_lo, s7
	s_cmp_lt_i32 s6, 2
	s_cbranch_scc1 .LBB17_242
; %bb.230:
	s_add_u32 s1, s16, s22
	s_addc_u32 s3, s17, s23
	s_add_u32 s2, s1, 4
	s_addc_u32 s3, s3, 0
	s_lshl_b64 s[4:5], s[12:13], 3
	s_lshl_b64 s[12:13], s[34:35], 3
	v_mov_b32_e32 v0, 0
	s_add_u32 s1, s4, s12
	s_addc_u32 s4, s5, s13
	s_add_u32 s1, s8, s1
	s_addc_u32 s7, s9, s4
	s_mov_b32 s4, 1
	s_branch .LBB17_232
.LBB17_231:                             ;   in Loop: Header=BB17_232 Depth=1
	s_add_i32 s4, s4, 1
	s_add_u32 s2, s2, 4
	s_addc_u32 s3, s3, 0
	s_cmp_lg_u32 s4, s6
	s_waitcnt_vscnt null, 0x0
	s_barrier
	buffer_gl0_inv
	s_cbranch_scc0 .LBB17_242
.LBB17_232:                             ; =>This Loop Header: Depth=1
                                        ;     Child Loop BB17_235 Depth 2
                                        ;     Child Loop BB17_241 Depth 2
	s_and_saveexec_b32 s10, s0
	s_cbranch_execz .LBB17_239
; %bb.233:                              ;   in Loop: Header=BB17_232 Depth=1
	s_ashr_i32 s5, s4, 31
	s_mov_b64 s[14:15], s[2:3]
	s_lshl_b64 s[8:9], s[4:5], 2
	s_add_i32 s5, s4, -1
	s_add_u32 s8, s18, s8
	s_addc_u32 s9, s19, s9
	v_mov_b32_e32 v2, s5
	global_load_dword v1, v0, s[8:9] offset:-4
	v_mov_b32_e32 v3, s5
	s_mov_b32 s12, s5
	s_mov_b32 s13, s4
	ds_write_b64 v0, v[2:3]
	s_waitcnt vmcnt(0)
	v_mov_b32_e32 v2, v1
	ds_write_b32 v0, v1 offset:8
	s_branch .LBB17_235
.LBB17_234:                             ;   in Loop: Header=BB17_235 Depth=2
	s_add_i32 s13, s13, 1
	s_add_u32 s14, s14, 4
	s_addc_u32 s15, s15, 0
	s_cmp_eq_u32 s6, s13
	s_cbranch_scc1 .LBB17_237
.LBB17_235:                             ;   Parent Loop BB17_232 Depth=1
                                        ; =>  This Inner Loop Header: Depth=2
	global_load_dword v3, v0, s[14:15]
	s_waitcnt vmcnt(0)
	v_cmp_nlt_f32_e32 vcc_lo, v3, v2
	s_cbranch_vccnz .LBB17_234
; %bb.236:                              ;   in Loop: Header=BB17_235 Depth=2
	v_mov_b32_e32 v4, s13
	v_mov_b32_e32 v2, v3
	s_mov_b32 s12, s13
	ds_write2_b32 v0, v4, v3 offset0:1 offset1:2
	s_branch .LBB17_234
.LBB17_237:                             ;   in Loop: Header=BB17_232 Depth=1
	s_cmp_lg_u32 s12, s5
	s_cbranch_scc0 .LBB17_239
; %bb.238:                              ;   in Loop: Header=BB17_232 Depth=1
	s_ashr_i32 s13, s12, 31
	s_lshl_b64 s[12:13], s[12:13], 2
	s_add_u32 s12, s18, s12
	s_addc_u32 s13, s19, s13
	global_store_dword v0, v1, s[12:13]
	global_store_dword v0, v2, s[8:9] offset:-4
.LBB17_239:                             ;   in Loop: Header=BB17_232 Depth=1
	s_or_b32 exec_lo, exec_lo, s10
	s_waitcnt lgkmcnt(0)
	s_waitcnt_vscnt null, 0x0
	s_barrier
	buffer_gl0_inv
	ds_read_b64 v[1:2], v0
	s_waitcnt lgkmcnt(0)
	v_readfirstlane_b32 s5, v1
	v_readfirstlane_b32 s8, v2
	s_cmp_eq_u32 s8, s5
	s_cbranch_scc1 .LBB17_231
; %bb.240:                              ;   in Loop: Header=BB17_232 Depth=1
	s_mul_i32 s8, s8, s11
	s_mul_i32 s12, s5, s11
	s_ashr_i32 s9, s8, 31
	s_mov_b32 s5, s6
	s_lshl_b64 s[8:9], s[8:9], 3
	s_add_u32 s8, s1, s8
	s_addc_u32 s9, s7, s9
	s_ashr_i32 s13, s12, 31
	s_lshl_b64 s[12:13], s[12:13], 3
	s_add_u32 s12, s1, s12
	s_addc_u32 s13, s7, s13
.LBB17_241:                             ;   Parent Loop BB17_232 Depth=1
                                        ; =>  This Inner Loop Header: Depth=2
	s_clause 0x1
	global_load_dwordx2 v[1:2], v0, s[8:9]
	global_load_dwordx2 v[3:4], v0, s[12:13]
	s_add_i32 s5, s5, -1
	s_waitcnt vmcnt(1)
	global_store_dwordx2 v0, v[1:2], s[12:13]
	s_waitcnt vmcnt(0)
	global_store_dwordx2 v0, v[3:4], s[8:9]
	s_add_u32 s8, s8, 8
	s_addc_u32 s9, s9, 0
	s_add_u32 s12, s12, 8
	s_addc_u32 s13, s13, 0
	s_cmp_lg_u32 s5, 0
	s_cbranch_scc1 .LBB17_241
	s_branch .LBB17_231
.LBB17_242:
	s_endpgm
	.section	.rodata,"a",@progbits
	.p2align	6, 0x0
	.amdhsa_kernel _ZN9rocsolver6v33100L12steqr_kernelI19rocblas_complex_numIfEfPS3_EEviPT0_lS6_lT1_iilPiS6_iS5_S5_S5_
		.amdhsa_group_segment_fixed_size 36
		.amdhsa_private_segment_fixed_size 0
		.amdhsa_kernarg_size 352
		.amdhsa_user_sgpr_count 6
		.amdhsa_user_sgpr_private_segment_buffer 1
		.amdhsa_user_sgpr_dispatch_ptr 0
		.amdhsa_user_sgpr_queue_ptr 0
		.amdhsa_user_sgpr_kernarg_segment_ptr 1
		.amdhsa_user_sgpr_dispatch_id 0
		.amdhsa_user_sgpr_flat_scratch_init 0
		.amdhsa_user_sgpr_private_segment_size 0
		.amdhsa_wavefront_size32 1
		.amdhsa_uses_dynamic_stack 0
		.amdhsa_system_sgpr_private_segment_wavefront_offset 0
		.amdhsa_system_sgpr_workgroup_id_x 1
		.amdhsa_system_sgpr_workgroup_id_y 1
		.amdhsa_system_sgpr_workgroup_id_z 0
		.amdhsa_system_sgpr_workgroup_info 0
		.amdhsa_system_vgpr_workitem_id 0
		.amdhsa_next_free_vgpr 59
		.amdhsa_next_free_sgpr 86
		.amdhsa_reserve_vcc 1
		.amdhsa_reserve_flat_scratch 0
		.amdhsa_float_round_mode_32 0
		.amdhsa_float_round_mode_16_64 0
		.amdhsa_float_denorm_mode_32 3
		.amdhsa_float_denorm_mode_16_64 3
		.amdhsa_dx10_clamp 1
		.amdhsa_ieee_mode 1
		.amdhsa_fp16_overflow 0
		.amdhsa_workgroup_processor_mode 1
		.amdhsa_memory_ordered 1
		.amdhsa_forward_progress 1
		.amdhsa_shared_vgpr_count 0
		.amdhsa_exception_fp_ieee_invalid_op 0
		.amdhsa_exception_fp_denorm_src 0
		.amdhsa_exception_fp_ieee_div_zero 0
		.amdhsa_exception_fp_ieee_overflow 0
		.amdhsa_exception_fp_ieee_underflow 0
		.amdhsa_exception_fp_ieee_inexact 0
		.amdhsa_exception_int_div_zero 0
	.end_amdhsa_kernel
	.section	.text._ZN9rocsolver6v33100L12steqr_kernelI19rocblas_complex_numIfEfPS3_EEviPT0_lS6_lT1_iilPiS6_iS5_S5_S5_,"axG",@progbits,_ZN9rocsolver6v33100L12steqr_kernelI19rocblas_complex_numIfEfPS3_EEviPT0_lS6_lT1_iilPiS6_iS5_S5_S5_,comdat
.Lfunc_end17:
	.size	_ZN9rocsolver6v33100L12steqr_kernelI19rocblas_complex_numIfEfPS3_EEviPT0_lS6_lT1_iilPiS6_iS5_S5_S5_, .Lfunc_end17-_ZN9rocsolver6v33100L12steqr_kernelI19rocblas_complex_numIfEfPS3_EEviPT0_lS6_lT1_iilPiS6_iS5_S5_S5_
                                        ; -- End function
	.set _ZN9rocsolver6v33100L12steqr_kernelI19rocblas_complex_numIfEfPS3_EEviPT0_lS6_lT1_iilPiS6_iS5_S5_S5_.num_vgpr, 59
	.set _ZN9rocsolver6v33100L12steqr_kernelI19rocblas_complex_numIfEfPS3_EEviPT0_lS6_lT1_iilPiS6_iS5_S5_S5_.num_agpr, 0
	.set _ZN9rocsolver6v33100L12steqr_kernelI19rocblas_complex_numIfEfPS3_EEviPT0_lS6_lT1_iilPiS6_iS5_S5_S5_.numbered_sgpr, 86
	.set _ZN9rocsolver6v33100L12steqr_kernelI19rocblas_complex_numIfEfPS3_EEviPT0_lS6_lT1_iilPiS6_iS5_S5_S5_.num_named_barrier, 0
	.set _ZN9rocsolver6v33100L12steqr_kernelI19rocblas_complex_numIfEfPS3_EEviPT0_lS6_lT1_iilPiS6_iS5_S5_S5_.private_seg_size, 0
	.set _ZN9rocsolver6v33100L12steqr_kernelI19rocblas_complex_numIfEfPS3_EEviPT0_lS6_lT1_iilPiS6_iS5_S5_S5_.uses_vcc, 1
	.set _ZN9rocsolver6v33100L12steqr_kernelI19rocblas_complex_numIfEfPS3_EEviPT0_lS6_lT1_iilPiS6_iS5_S5_S5_.uses_flat_scratch, 0
	.set _ZN9rocsolver6v33100L12steqr_kernelI19rocblas_complex_numIfEfPS3_EEviPT0_lS6_lT1_iilPiS6_iS5_S5_S5_.has_dyn_sized_stack, 0
	.set _ZN9rocsolver6v33100L12steqr_kernelI19rocblas_complex_numIfEfPS3_EEviPT0_lS6_lT1_iilPiS6_iS5_S5_S5_.has_recursion, 0
	.set _ZN9rocsolver6v33100L12steqr_kernelI19rocblas_complex_numIfEfPS3_EEviPT0_lS6_lT1_iilPiS6_iS5_S5_S5_.has_indirect_call, 0
	.section	.AMDGPU.csdata,"",@progbits
; Kernel info:
; codeLenInByte = 14084
; TotalNumSgprs: 88
; NumVgprs: 59
; ScratchSize: 0
; MemoryBound: 0
; FloatMode: 240
; IeeeMode: 1
; LDSByteSize: 36 bytes/workgroup (compile time only)
; SGPRBlocks: 0
; VGPRBlocks: 7
; NumSGPRsForWavesPerEU: 88
; NumVGPRsForWavesPerEU: 59
; Occupancy: 16
; WaveLimiterHint : 0
; COMPUTE_PGM_RSRC2:SCRATCH_EN: 0
; COMPUTE_PGM_RSRC2:USER_SGPR: 6
; COMPUTE_PGM_RSRC2:TRAP_HANDLER: 0
; COMPUTE_PGM_RSRC2:TGID_X_EN: 1
; COMPUTE_PGM_RSRC2:TGID_Y_EN: 1
; COMPUTE_PGM_RSRC2:TGID_Z_EN: 0
; COMPUTE_PGM_RSRC2:TIDIG_COMP_CNT: 0
	.section	.text._ZN9rocsolver6v33100L16reset_batch_infoI19rocblas_complex_numIdEiiPS3_EEvT2_lT0_T1_,"axG",@progbits,_ZN9rocsolver6v33100L16reset_batch_infoI19rocblas_complex_numIdEiiPS3_EEvT2_lT0_T1_,comdat
	.globl	_ZN9rocsolver6v33100L16reset_batch_infoI19rocblas_complex_numIdEiiPS3_EEvT2_lT0_T1_ ; -- Begin function _ZN9rocsolver6v33100L16reset_batch_infoI19rocblas_complex_numIdEiiPS3_EEvT2_lT0_T1_
	.p2align	8
	.type	_ZN9rocsolver6v33100L16reset_batch_infoI19rocblas_complex_numIdEiiPS3_EEvT2_lT0_T1_,@function
_ZN9rocsolver6v33100L16reset_batch_infoI19rocblas_complex_numIdEiiPS3_EEvT2_lT0_T1_: ; @_ZN9rocsolver6v33100L16reset_batch_infoI19rocblas_complex_numIdEiiPS3_EEvT2_lT0_T1_
; %bb.0:
	s_clause 0x1
	s_load_dword s2, s[4:5], 0x24
	s_load_dwordx2 s[0:1], s[4:5], 0x10
	s_waitcnt lgkmcnt(0)
	s_and_b32 s2, s2, 0xffff
	v_mad_u64_u32 v[0:1], null, s6, s2, v[0:1]
	v_cmp_gt_i32_e32 vcc_lo, s0, v0
	s_and_saveexec_b32 s0, vcc_lo
	s_cbranch_execz .LBB18_2
; %bb.1:
	s_load_dwordx4 s[8:11], s[4:5], 0x0
	v_cvt_f64_i32_e32 v[2:3], s1
	s_ashr_i32 s0, s7, 31
	v_ashrrev_i32_e32 v1, 31, v0
	v_mov_b32_e32 v4, 0
	v_lshlrev_b64 v[0:1], 4, v[0:1]
	v_mov_b32_e32 v5, v4
	s_waitcnt lgkmcnt(0)
	s_mul_hi_u32 s1, s10, s7
	s_mul_i32 s0, s10, s0
	s_mul_i32 s2, s11, s7
	s_add_i32 s1, s1, s0
	s_mul_i32 s0, s10, s7
	s_add_i32 s1, s1, s2
	s_lshl_b64 s[0:1], s[0:1], 4
	s_add_u32 s0, s8, s0
	s_addc_u32 s1, s9, s1
	v_add_co_u32 v0, vcc_lo, s0, v0
	v_add_co_ci_u32_e64 v1, null, s1, v1, vcc_lo
	global_store_dwordx4 v[0:1], v[2:5], off
.LBB18_2:
	s_endpgm
	.section	.rodata,"a",@progbits
	.p2align	6, 0x0
	.amdhsa_kernel _ZN9rocsolver6v33100L16reset_batch_infoI19rocblas_complex_numIdEiiPS3_EEvT2_lT0_T1_
		.amdhsa_group_segment_fixed_size 0
		.amdhsa_private_segment_fixed_size 0
		.amdhsa_kernarg_size 280
		.amdhsa_user_sgpr_count 6
		.amdhsa_user_sgpr_private_segment_buffer 1
		.amdhsa_user_sgpr_dispatch_ptr 0
		.amdhsa_user_sgpr_queue_ptr 0
		.amdhsa_user_sgpr_kernarg_segment_ptr 1
		.amdhsa_user_sgpr_dispatch_id 0
		.amdhsa_user_sgpr_flat_scratch_init 0
		.amdhsa_user_sgpr_private_segment_size 0
		.amdhsa_wavefront_size32 1
		.amdhsa_uses_dynamic_stack 0
		.amdhsa_system_sgpr_private_segment_wavefront_offset 0
		.amdhsa_system_sgpr_workgroup_id_x 1
		.amdhsa_system_sgpr_workgroup_id_y 1
		.amdhsa_system_sgpr_workgroup_id_z 0
		.amdhsa_system_sgpr_workgroup_info 0
		.amdhsa_system_vgpr_workitem_id 0
		.amdhsa_next_free_vgpr 6
		.amdhsa_next_free_sgpr 12
		.amdhsa_reserve_vcc 1
		.amdhsa_reserve_flat_scratch 0
		.amdhsa_float_round_mode_32 0
		.amdhsa_float_round_mode_16_64 0
		.amdhsa_float_denorm_mode_32 3
		.amdhsa_float_denorm_mode_16_64 3
		.amdhsa_dx10_clamp 1
		.amdhsa_ieee_mode 1
		.amdhsa_fp16_overflow 0
		.amdhsa_workgroup_processor_mode 1
		.amdhsa_memory_ordered 1
		.amdhsa_forward_progress 1
		.amdhsa_shared_vgpr_count 0
		.amdhsa_exception_fp_ieee_invalid_op 0
		.amdhsa_exception_fp_denorm_src 0
		.amdhsa_exception_fp_ieee_div_zero 0
		.amdhsa_exception_fp_ieee_overflow 0
		.amdhsa_exception_fp_ieee_underflow 0
		.amdhsa_exception_fp_ieee_inexact 0
		.amdhsa_exception_int_div_zero 0
	.end_amdhsa_kernel
	.section	.text._ZN9rocsolver6v33100L16reset_batch_infoI19rocblas_complex_numIdEiiPS3_EEvT2_lT0_T1_,"axG",@progbits,_ZN9rocsolver6v33100L16reset_batch_infoI19rocblas_complex_numIdEiiPS3_EEvT2_lT0_T1_,comdat
.Lfunc_end18:
	.size	_ZN9rocsolver6v33100L16reset_batch_infoI19rocblas_complex_numIdEiiPS3_EEvT2_lT0_T1_, .Lfunc_end18-_ZN9rocsolver6v33100L16reset_batch_infoI19rocblas_complex_numIdEiiPS3_EEvT2_lT0_T1_
                                        ; -- End function
	.set _ZN9rocsolver6v33100L16reset_batch_infoI19rocblas_complex_numIdEiiPS3_EEvT2_lT0_T1_.num_vgpr, 6
	.set _ZN9rocsolver6v33100L16reset_batch_infoI19rocblas_complex_numIdEiiPS3_EEvT2_lT0_T1_.num_agpr, 0
	.set _ZN9rocsolver6v33100L16reset_batch_infoI19rocblas_complex_numIdEiiPS3_EEvT2_lT0_T1_.numbered_sgpr, 12
	.set _ZN9rocsolver6v33100L16reset_batch_infoI19rocblas_complex_numIdEiiPS3_EEvT2_lT0_T1_.num_named_barrier, 0
	.set _ZN9rocsolver6v33100L16reset_batch_infoI19rocblas_complex_numIdEiiPS3_EEvT2_lT0_T1_.private_seg_size, 0
	.set _ZN9rocsolver6v33100L16reset_batch_infoI19rocblas_complex_numIdEiiPS3_EEvT2_lT0_T1_.uses_vcc, 1
	.set _ZN9rocsolver6v33100L16reset_batch_infoI19rocblas_complex_numIdEiiPS3_EEvT2_lT0_T1_.uses_flat_scratch, 0
	.set _ZN9rocsolver6v33100L16reset_batch_infoI19rocblas_complex_numIdEiiPS3_EEvT2_lT0_T1_.has_dyn_sized_stack, 0
	.set _ZN9rocsolver6v33100L16reset_batch_infoI19rocblas_complex_numIdEiiPS3_EEvT2_lT0_T1_.has_recursion, 0
	.set _ZN9rocsolver6v33100L16reset_batch_infoI19rocblas_complex_numIdEiiPS3_EEvT2_lT0_T1_.has_indirect_call, 0
	.section	.AMDGPU.csdata,"",@progbits
; Kernel info:
; codeLenInByte = 156
; TotalNumSgprs: 14
; NumVgprs: 6
; ScratchSize: 0
; MemoryBound: 0
; FloatMode: 240
; IeeeMode: 1
; LDSByteSize: 0 bytes/workgroup (compile time only)
; SGPRBlocks: 0
; VGPRBlocks: 0
; NumSGPRsForWavesPerEU: 14
; NumVGPRsForWavesPerEU: 6
; Occupancy: 16
; WaveLimiterHint : 0
; COMPUTE_PGM_RSRC2:SCRATCH_EN: 0
; COMPUTE_PGM_RSRC2:USER_SGPR: 6
; COMPUTE_PGM_RSRC2:TRAP_HANDLER: 0
; COMPUTE_PGM_RSRC2:TGID_X_EN: 1
; COMPUTE_PGM_RSRC2:TGID_Y_EN: 1
; COMPUTE_PGM_RSRC2:TGID_Z_EN: 0
; COMPUTE_PGM_RSRC2:TIDIG_COMP_CNT: 0
	.section	.text._ZN9rocsolver6v33100L10init_identI19rocblas_complex_numIdEPS3_EEviiT0_iil,"axG",@progbits,_ZN9rocsolver6v33100L10init_identI19rocblas_complex_numIdEPS3_EEviiT0_iil,comdat
	.globl	_ZN9rocsolver6v33100L10init_identI19rocblas_complex_numIdEPS3_EEviiT0_iil ; -- Begin function _ZN9rocsolver6v33100L10init_identI19rocblas_complex_numIdEPS3_EEviiT0_iil
	.p2align	8
	.type	_ZN9rocsolver6v33100L10init_identI19rocblas_complex_numIdEPS3_EEviiT0_iil,@function
_ZN9rocsolver6v33100L10init_identI19rocblas_complex_numIdEPS3_EEviiT0_iil: ; @_ZN9rocsolver6v33100L10init_identI19rocblas_complex_numIdEPS3_EEviiT0_iil
; %bb.0:
	s_clause 0x1
	s_load_dword s2, s[4:5], 0x2c
	s_load_dwordx2 s[0:1], s[4:5], 0x0
	s_waitcnt lgkmcnt(0)
	s_lshr_b32 s3, s2, 16
	s_and_b32 s2, s2, 0xffff
	v_mad_u64_u32 v[3:4], null, s6, s2, v[0:1]
	v_mad_u64_u32 v[0:1], null, s7, s3, v[1:2]
	v_cmp_gt_u32_e32 vcc_lo, s0, v3
	v_cmp_gt_u32_e64 s0, s1, v0
	s_and_b32 s0, vcc_lo, s0
	s_and_saveexec_b32 s1, s0
	s_cbranch_execz .LBB19_6
; %bb.1:
	s_load_dwordx2 s[0:1], s[4:5], 0x10
	s_mov_b32 s2, exec_lo
                                        ; implicit-def: $vgpr2
	v_cmpx_ne_u32_e64 v3, v0
	s_xor_b32 s2, exec_lo, s2
	s_cbranch_execz .LBB19_3
; %bb.2:
	s_waitcnt lgkmcnt(0)
	v_mad_u64_u32 v[2:3], null, v0, s1, v[3:4]
                                        ; implicit-def: $vgpr3_vgpr4
.LBB19_3:
	s_or_saveexec_b32 s2, s2
	v_mov_b32_e32 v0, 0
	v_mov_b32_e32 v1, 0
	s_xor_b32 exec_lo, exec_lo, s2
	s_cbranch_execz .LBB19_5
; %bb.4:
	s_waitcnt lgkmcnt(0)
	v_mad_u64_u32 v[2:3], null, v3, s1, v[3:4]
	v_mov_b32_e32 v0, 0
	v_mov_b32_e32 v1, 0x3ff00000
.LBB19_5:
	s_or_b32 exec_lo, exec_lo, s2
	s_clause 0x1
	s_load_dwordx2 s[2:3], s[4:5], 0x18
	s_load_dwordx2 s[4:5], s[4:5], 0x8
	v_mov_b32_e32 v3, 0
	v_lshlrev_b64 v[4:5], 4, v[2:3]
	v_mov_b32_e32 v2, v3
	s_waitcnt lgkmcnt(0)
	s_mul_i32 s1, s3, s8
	s_mul_hi_u32 s3, s2, s8
	s_mul_i32 s2, s2, s8
	s_add_i32 s3, s3, s1
	s_ashr_i32 s1, s0, 31
	s_lshl_b64 s[2:3], s[2:3], 4
	s_add_u32 s2, s4, s2
	s_addc_u32 s3, s5, s3
	s_lshl_b64 s[0:1], s[0:1], 4
	s_add_u32 s0, s2, s0
	s_addc_u32 s1, s3, s1
	v_add_co_u32 v4, vcc_lo, s0, v4
	v_add_co_ci_u32_e64 v5, null, s1, v5, vcc_lo
	global_store_dwordx4 v[4:5], v[0:3], off
.LBB19_6:
	s_endpgm
	.section	.rodata,"a",@progbits
	.p2align	6, 0x0
	.amdhsa_kernel _ZN9rocsolver6v33100L10init_identI19rocblas_complex_numIdEPS3_EEviiT0_iil
		.amdhsa_group_segment_fixed_size 0
		.amdhsa_private_segment_fixed_size 0
		.amdhsa_kernarg_size 288
		.amdhsa_user_sgpr_count 6
		.amdhsa_user_sgpr_private_segment_buffer 1
		.amdhsa_user_sgpr_dispatch_ptr 0
		.amdhsa_user_sgpr_queue_ptr 0
		.amdhsa_user_sgpr_kernarg_segment_ptr 1
		.amdhsa_user_sgpr_dispatch_id 0
		.amdhsa_user_sgpr_flat_scratch_init 0
		.amdhsa_user_sgpr_private_segment_size 0
		.amdhsa_wavefront_size32 1
		.amdhsa_uses_dynamic_stack 0
		.amdhsa_system_sgpr_private_segment_wavefront_offset 0
		.amdhsa_system_sgpr_workgroup_id_x 1
		.amdhsa_system_sgpr_workgroup_id_y 1
		.amdhsa_system_sgpr_workgroup_id_z 1
		.amdhsa_system_sgpr_workgroup_info 0
		.amdhsa_system_vgpr_workitem_id 1
		.amdhsa_next_free_vgpr 6
		.amdhsa_next_free_sgpr 9
		.amdhsa_reserve_vcc 1
		.amdhsa_reserve_flat_scratch 0
		.amdhsa_float_round_mode_32 0
		.amdhsa_float_round_mode_16_64 0
		.amdhsa_float_denorm_mode_32 3
		.amdhsa_float_denorm_mode_16_64 3
		.amdhsa_dx10_clamp 1
		.amdhsa_ieee_mode 1
		.amdhsa_fp16_overflow 0
		.amdhsa_workgroup_processor_mode 1
		.amdhsa_memory_ordered 1
		.amdhsa_forward_progress 1
		.amdhsa_shared_vgpr_count 0
		.amdhsa_exception_fp_ieee_invalid_op 0
		.amdhsa_exception_fp_denorm_src 0
		.amdhsa_exception_fp_ieee_div_zero 0
		.amdhsa_exception_fp_ieee_overflow 0
		.amdhsa_exception_fp_ieee_underflow 0
		.amdhsa_exception_fp_ieee_inexact 0
		.amdhsa_exception_int_div_zero 0
	.end_amdhsa_kernel
	.section	.text._ZN9rocsolver6v33100L10init_identI19rocblas_complex_numIdEPS3_EEviiT0_iil,"axG",@progbits,_ZN9rocsolver6v33100L10init_identI19rocblas_complex_numIdEPS3_EEviiT0_iil,comdat
.Lfunc_end19:
	.size	_ZN9rocsolver6v33100L10init_identI19rocblas_complex_numIdEPS3_EEviiT0_iil, .Lfunc_end19-_ZN9rocsolver6v33100L10init_identI19rocblas_complex_numIdEPS3_EEviiT0_iil
                                        ; -- End function
	.set _ZN9rocsolver6v33100L10init_identI19rocblas_complex_numIdEPS3_EEviiT0_iil.num_vgpr, 6
	.set _ZN9rocsolver6v33100L10init_identI19rocblas_complex_numIdEPS3_EEviiT0_iil.num_agpr, 0
	.set _ZN9rocsolver6v33100L10init_identI19rocblas_complex_numIdEPS3_EEviiT0_iil.numbered_sgpr, 9
	.set _ZN9rocsolver6v33100L10init_identI19rocblas_complex_numIdEPS3_EEviiT0_iil.num_named_barrier, 0
	.set _ZN9rocsolver6v33100L10init_identI19rocblas_complex_numIdEPS3_EEviiT0_iil.private_seg_size, 0
	.set _ZN9rocsolver6v33100L10init_identI19rocblas_complex_numIdEPS3_EEviiT0_iil.uses_vcc, 1
	.set _ZN9rocsolver6v33100L10init_identI19rocblas_complex_numIdEPS3_EEviiT0_iil.uses_flat_scratch, 0
	.set _ZN9rocsolver6v33100L10init_identI19rocblas_complex_numIdEPS3_EEviiT0_iil.has_dyn_sized_stack, 0
	.set _ZN9rocsolver6v33100L10init_identI19rocblas_complex_numIdEPS3_EEviiT0_iil.has_recursion, 0
	.set _ZN9rocsolver6v33100L10init_identI19rocblas_complex_numIdEPS3_EEviiT0_iil.has_indirect_call, 0
	.section	.AMDGPU.csdata,"",@progbits
; Kernel info:
; codeLenInByte = 276
; TotalNumSgprs: 11
; NumVgprs: 6
; ScratchSize: 0
; MemoryBound: 0
; FloatMode: 240
; IeeeMode: 1
; LDSByteSize: 0 bytes/workgroup (compile time only)
; SGPRBlocks: 0
; VGPRBlocks: 0
; NumSGPRsForWavesPerEU: 11
; NumVGPRsForWavesPerEU: 6
; Occupancy: 16
; WaveLimiterHint : 0
; COMPUTE_PGM_RSRC2:SCRATCH_EN: 0
; COMPUTE_PGM_RSRC2:USER_SGPR: 6
; COMPUTE_PGM_RSRC2:TRAP_HANDLER: 0
; COMPUTE_PGM_RSRC2:TGID_X_EN: 1
; COMPUTE_PGM_RSRC2:TGID_Y_EN: 1
; COMPUTE_PGM_RSRC2:TGID_Z_EN: 1
; COMPUTE_PGM_RSRC2:TIDIG_COMP_CNT: 1
	.section	.text._ZN9rocsolver6v33100L11lasr_kernelI19rocblas_complex_numIdEdPS3_iEEv13rocblas_side_14rocblas_pivot_15rocblas_direct_T2_S8_PT0_lSA_lT1_lS8_lS8_,"axG",@progbits,_ZN9rocsolver6v33100L11lasr_kernelI19rocblas_complex_numIdEdPS3_iEEv13rocblas_side_14rocblas_pivot_15rocblas_direct_T2_S8_PT0_lSA_lT1_lS8_lS8_,comdat
	.globl	_ZN9rocsolver6v33100L11lasr_kernelI19rocblas_complex_numIdEdPS3_iEEv13rocblas_side_14rocblas_pivot_15rocblas_direct_T2_S8_PT0_lSA_lT1_lS8_lS8_ ; -- Begin function _ZN9rocsolver6v33100L11lasr_kernelI19rocblas_complex_numIdEdPS3_iEEv13rocblas_side_14rocblas_pivot_15rocblas_direct_T2_S8_PT0_lSA_lT1_lS8_lS8_
	.p2align	8
	.type	_ZN9rocsolver6v33100L11lasr_kernelI19rocblas_complex_numIdEdPS3_iEEv13rocblas_side_14rocblas_pivot_15rocblas_direct_T2_S8_PT0_lSA_lT1_lS8_lS8_,@function
_ZN9rocsolver6v33100L11lasr_kernelI19rocblas_complex_numIdEdPS3_iEEv13rocblas_side_14rocblas_pivot_15rocblas_direct_T2_S8_PT0_lSA_lT1_lS8_lS8_: ; @_ZN9rocsolver6v33100L11lasr_kernelI19rocblas_complex_numIdEdPS3_iEEv13rocblas_side_14rocblas_pivot_15rocblas_direct_T2_S8_PT0_lSA_lT1_lS8_lS8_
; %bb.0:
	s_load_dword s33, s[4:5], 0x58
	s_waitcnt lgkmcnt(0)
	s_cmp_ge_u32 s7, s33
	s_cbranch_scc1 .LBB20_108
; %bb.1:
	s_clause 0x5
	s_load_dword s20, s[4:5], 0x48
	s_load_dwordx4 s[16:19], s[4:5], 0x38
	s_load_dwordx2 s[22:23], s[4:5], 0x68
	s_load_dwordx4 s[0:3], s[4:5], 0x0
	s_load_dword s56, s[4:5], 0x10
	s_load_dwordx8 s[8:15], s[4:5], 0x18
	v_mov_b32_e32 v38, 0
	s_waitcnt lgkmcnt(0)
	s_ashr_i32 s21, s20, 31
	s_lshl_b64 s[38:39], s[18:19], 4
	s_and_b32 s24, s23, 0xffff
	s_add_u32 s23, s16, s38
	s_addc_u32 s57, s17, s39
	s_cmpk_eq_i32 s0, 0x8d
	v_mad_u64_u32 v[4:5], null, s6, s24, v[0:1]
	s_cselect_b32 s25, -1, 0
	s_cmpk_eq_i32 s0, 0x8e
	s_cselect_b32 s26, -1, 0
	s_cmpk_eq_i32 s1, 0x119
	;; [unrolled: 2-line block ×3, first 2 shown]
	v_ashrrev_i32_e32 v5, 31, v4
	s_cselect_b32 s27, -1, 0
	s_cmpk_eq_i32 s1, 0x11a
	s_clause 0x1
	s_load_dwordx2 s[18:19], s[4:5], 0x50
	s_load_dword s1, s[4:5], 0x60
	s_cselect_b32 s28, -1, 0
	s_cmpk_eq_i32 s2, 0xab
	v_lshlrev_b64 v[0:1], 4, v[4:5]
	s_cselect_b32 s4, -1, 0
	s_cmpk_eq_i32 s2, 0xac
	s_cselect_b32 s2, -1, 0
	s_and_b32 s5, s25, s0
	s_and_b32 s6, s25, s28
	;; [unrolled: 1-line block ×6, first 2 shown]
	s_xor_b32 s58, s5, -1
	s_and_b32 s5, s25, s2
	s_and_b32 s34, s25, s4
	;; [unrolled: 1-line block ×4, first 2 shown]
	s_xor_b32 s62, s5, -1
	s_and_b32 s5, s26, s28
	s_xor_b32 s64, s0, -1
	v_cmp_gt_i32_e64 s0, s3, v4
	s_xor_b32 s63, s25, -1
	s_and_b32 s25, s5, s4
	s_and_b32 s30, s6, s4
	s_xor_b32 s65, s25, -1
	s_and_b32 s25, s26, s27
	s_and_b32 s31, s6, s2
	;; [unrolled: 1-line block ×5, first 2 shown]
	s_xor_b32 s6, s29, -1
	s_xor_b32 s59, s30, -1
	;; [unrolled: 1-line block ×6, first 2 shown]
	s_and_b32 s68, s25, s2
	s_add_i32 s69, s56, -1
	s_add_i32 s4, s56, -2
	s_cmp_gt_i32 s56, 1
	s_mov_b32 s5, 0
	s_cselect_b32 s70, -1, 0
	s_ashr_i32 s27, s3, 31
	s_add_i32 s40, s3, -2
	s_cmp_gt_i32 s3, 1
	s_waitcnt lgkmcnt(0)
	s_mul_i32 s24, s1, s24
	s_cselect_b32 s71, -1, 0
	s_lshl_b64 s[30:31], s[4:5], 3
	s_mul_i32 s1, s21, s4
	s_add_u32 s72, s8, s30
	s_addc_u32 s73, s9, s31
	s_lshl_b64 s[10:11], s[10:11], 3
	s_mul_hi_u32 s2, s20, s4
	s_add_u32 s74, s12, s30
	s_addc_u32 s75, s13, s31
	s_add_i32 s31, s2, s1
	s_mul_i32 s30, s20, s4
	s_lshl_b64 s[14:15], s[14:15], 3
	s_lshl_b64 s[30:31], s[30:31], 4
	s_mul_i32 s28, s20, s69
	s_add_u32 s1, s30, s38
	s_addc_u32 s2, s31, s39
	s_add_u32 s1, s16, s1
	s_addc_u32 s2, s17, s2
	v_add_co_u32 v16, vcc_lo, s1, v0
	s_ashr_i32 s25, s24, 31
	s_lshl_b64 s[34:35], s[20:21], 4
	v_add_co_ci_u32_e64 v17, null, s2, v1, vcc_lo
	s_lshl_b64 s[30:31], s[18:19], 4
	s_lshl_b64 s[36:37], s[24:25], 4
	s_mul_i32 s2, s21, s69
	s_mul_hi_u32 s4, s20, s69
	s_sub_u32 s25, 0, s34
	s_subb_u32 s21, 0, s35
	s_add_i32 s43, s4, s2
	s_mov_b32 s42, s28
	s_add_i32 s76, s56, 1
	s_lshl_b64 s[42:43], s[42:43], 4
	v_add_co_u32 v18, vcc_lo, v16, 8
	s_add_u32 s2, s42, s38
	s_addc_u32 s4, s43, s39
	v_add_co_ci_u32_e64 v19, null, 0, v17, vcc_lo
	v_add_co_u32 v2, vcc_lo, s23, v0
	s_add_u32 s2, s16, s2
	v_add_co_ci_u32_e64 v3, null, s57, v1, vcc_lo
	s_addc_u32 s4, s17, s4
	v_add_co_u32 v5, vcc_lo, s2, v0
	v_add_co_ci_u32_e64 v6, null, s4, v1, vcc_lo
	v_add_co_u32 v20, vcc_lo, v2, 8
	s_add_u32 s2, s38, s34
	s_addc_u32 s4, s39, s35
	v_add_co_ci_u32_e64 v21, null, 0, v3, vcc_lo
	v_add_co_u32 v22, vcc_lo, v5, 8
	s_add_u32 s2, s16, s2
	v_add_co_ci_u32_e64 v23, null, 0, v6, vcc_lo
	s_addc_u32 s4, s17, s4
	v_add_co_u32 v2, vcc_lo, s2, v0
	v_add_co_ci_u32_e64 v3, null, s4, v1, vcc_lo
	v_mad_i64_i32 v[0:1], null, s20, v4, 0
	s_mov_b32 s41, s5
	s_add_i32 s4, s3, -1
	s_lshl_b64 s[42:43], s[40:41], 3
	v_add_co_u32 v24, vcc_lo, v2, 8
	s_add_u32 s77, s8, s42
	v_lshlrev_b64 v[0:1], 4, v[0:1]
	s_addc_u32 s78, s9, s43
	v_add_co_ci_u32_e64 v25, null, 0, v3, vcc_lo
	s_add_u32 s79, s12, s42
	s_addc_u32 s80, s13, s43
	v_add_co_u32 v0, vcc_lo, v0, s38
	s_lshl_b64 s[40:41], s[40:41], 4
	v_add_co_ci_u32_e64 v1, null, s39, v1, vcc_lo
	s_add_u32 s2, s16, s40
	s_addc_u32 s26, s17, s41
	v_add_co_u32 v26, vcc_lo, s2, v0
	v_add_co_ci_u32_e64 v27, null, s26, v1, vcc_lo
	s_mul_hi_i32 s39, s20, s24
	s_mul_i32 s38, s20, s24
	v_add_co_u32 v28, vcc_lo, v26, 8
	s_lshl_b64 s[40:41], s[4:5], 4
	s_lshl_b64 s[38:39], s[38:39], 4
	s_add_i32 s5, s3, 1
	v_add_co_ci_u32_e64 v29, null, 0, v27, vcc_lo
	v_add_co_u32 v2, vcc_lo, s16, v0
	s_add_u32 s2, s16, s40
	v_add_co_ci_u32_e64 v3, null, s17, v1, vcc_lo
	s_addc_u32 s16, s17, s41
	v_add_co_u32 v0, vcc_lo, s2, v0
	v_add_co_ci_u32_e64 v1, null, s16, v1, vcc_lo
	v_add_co_u32 v30, vcc_lo, v2, 8
	v_add_co_ci_u32_e64 v31, null, 0, v3, vcc_lo
	;; [unrolled: 2-line block ×4, first 2 shown]
	v_add_co_u32 v36, vcc_lo, v2, 24
	v_cmp_gt_i32_e64 s1, s56, v4
	v_add_co_ci_u32_e64 v37, null, 0, v3, vcc_lo
	s_mul_hi_i32 s29, s20, s69
	s_mov_b32 s26, s3
	s_branch .LBB20_4
.LBB20_2:                               ;   in Loop: Header=BB20_4 Depth=1
	s_or_b32 exec_lo, exec_lo, s46
.LBB20_3:                               ;   in Loop: Header=BB20_4 Depth=1
	s_add_i32 s7, s7, s22
	s_cmp_ge_u32 s7, s33
	s_cbranch_scc1 .LBB20_108
.LBB20_4:                               ; =>This Loop Header: Depth=1
                                        ;     Child Loop BB20_19 Depth 2
                                        ;       Child Loop BB20_20 Depth 3
                                        ;     Child Loop BB20_26 Depth 2
                                        ;       Child Loop BB20_27 Depth 3
	;; [unrolled: 2-line block ×12, first 2 shown]
	s_mul_i32 s16, s15, s7
	s_mul_hi_u32 s17, s14, s7
	s_mul_i32 s2, s14, s7
	s_add_i32 s49, s17, s16
	s_mul_i32 s40, s11, s7
	s_mul_hi_u32 s41, s10, s7
	s_add_u32 s16, s12, s2
	s_mul_i32 s46, s10, s7
	s_addc_u32 s17, s13, s49
	s_add_i32 s47, s41, s40
	s_mul_i32 s42, s19, s7
	s_mul_hi_u32 s43, s18, s7
	s_add_u32 s40, s8, s46
	s_addc_u32 s41, s9, s47
	s_add_i32 s43, s43, s42
	s_mul_i32 s42, s18, s7
	s_mul_i32 s44, s31, s7
	s_mul_hi_u32 s83, s30, s7
	s_lshl_b64 s[42:43], s[42:43], 4
	s_add_i32 s83, s83, s44
	s_add_u32 s81, s23, s42
	s_mul_i32 s84, s30, s7
	s_addc_u32 s82, s57, s43
	s_and_b32 vcc_lo, exec_lo, s6
	s_mov_b32 s42, -1
	s_cbranch_vccnz .LBB20_6
; %bb.5:                                ;   in Loop: Header=BB20_4 Depth=1
	s_andn2_b32 vcc_lo, exec_lo, s42
	s_cbranch_vccnz .LBB20_3
	s_branch .LBB20_103
.LBB20_6:                               ;   in Loop: Header=BB20_4 Depth=1
	s_add_u32 s42, s77, s46
	s_addc_u32 s43, s78, s47
	s_add_u32 s44, s79, s2
	s_addc_u32 s45, s80, s49
	s_and_b32 vcc_lo, exec_lo, s58
	s_mov_b32 s48, -1
	s_cbranch_vccz .LBB20_95
; %bb.7:                                ;   in Loop: Header=BB20_4 Depth=1
	s_and_b32 vcc_lo, exec_lo, s59
	s_cbranch_vccz .LBB20_87
; %bb.8:                                ;   in Loop: Header=BB20_4 Depth=1
	s_and_b32 vcc_lo, exec_lo, s60
	;; [unrolled: 3-line block ×3, first 2 shown]
	s_cbranch_vccz .LBB20_71
; %bb.10:                               ;   in Loop: Header=BB20_4 Depth=1
	s_and_b32 vcc_lo, exec_lo, s62
	s_cbranch_vccz .LBB20_63
; %bb.11:                               ;   in Loop: Header=BB20_4 Depth=1
	v_add_co_u32 v5, vcc_lo, v20, s84
	v_add_co_ci_u32_e64 v6, null, s83, v21, vcc_lo
	s_and_b32 vcc_lo, exec_lo, s63
	s_cbranch_vccz .LBB20_55
; %bb.12:                               ;   in Loop: Header=BB20_4 Depth=1
	v_add_co_u32 v7, vcc_lo, v22, s84
	v_add_co_ci_u32_e64 v8, null, s83, v23, vcc_lo
	s_add_u32 s46, s72, s46
	s_addc_u32 s47, s73, s47
	s_add_u32 s48, s74, s2
	s_addc_u32 s49, s75, s49
	s_and_b32 vcc_lo, exec_lo, s64
	s_mov_b32 s2, -1
	s_cbranch_vccz .LBB20_46
; %bb.13:                               ;   in Loop: Header=BB20_4 Depth=1
	s_and_b32 vcc_lo, exec_lo, s65
	s_cbranch_vccz .LBB20_38
; %bb.14:                               ;   in Loop: Header=BB20_4 Depth=1
	s_and_b32 vcc_lo, exec_lo, s66
	;; [unrolled: 3-line block ×3, first 2 shown]
	s_cbranch_vccz .LBB20_22
; %bb.16:                               ;   in Loop: Header=BB20_4 Depth=1
	s_and_saveexec_b32 s54, s68
	s_cbranch_execz .LBB20_21
; %bb.17:                               ;   in Loop: Header=BB20_4 Depth=1
	v_add_co_u32 v9, vcc_lo, v18, s84
	v_add_co_ci_u32_e64 v10, null, s83, v19, vcc_lo
	s_lshl_b64 s[50:51], s[28:29], 4
	v_mov_b32_e32 v11, v4
	s_add_u32 s55, s81, s50
	s_addc_u32 s85, s82, s51
	s_mov_b32 s86, 0
	s_branch .LBB20_19
.LBB20_18:                              ;   in Loop: Header=BB20_19 Depth=2
	v_add_nc_u32_e32 v11, s24, v11
	v_add_co_u32 v9, s2, v9, s36
	v_add_co_ci_u32_e64 v10, null, s37, v10, s2
	v_cmp_le_i32_e32 vcc_lo, s3, v11
	s_waitcnt vmcnt(0)
	global_store_dwordx4 v[12:13], v[0:3], off
	s_or_b32 s86, vcc_lo, s86
	s_andn2_b32 exec_lo, exec_lo, s86
	s_cbranch_execz .LBB20_21
.LBB20_19:                              ;   Parent Loop BB20_4 Depth=1
                                        ; =>  This Loop Header: Depth=2
                                        ;       Child Loop BB20_20 Depth 3
	v_ashrrev_i32_e32 v12, 31, v11
	v_mov_b32_e32 v15, v10
	v_mov_b32_e32 v14, v9
	s_mov_b64 s[50:51], s[48:49]
	s_mov_b64 s[52:53], s[46:47]
	v_lshlrev_b64 v[0:1], 4, v[11:12]
	s_mov_b32 s2, s69
	v_add_co_u32 v12, vcc_lo, s55, v0
	v_add_co_ci_u32_e64 v13, null, s85, v1, vcc_lo
	s_andn2_b32 vcc_lo, exec_lo, s70
	global_load_dwordx4 v[0:3], v[12:13], off
	s_cbranch_vccnz .LBB20_18
	.p2align	6
.LBB20_20:                              ;   Parent Loop BB20_4 Depth=1
                                        ;     Parent Loop BB20_19 Depth=2
                                        ; =>    This Inner Loop Header: Depth=3
	global_load_dwordx4 v[39:42], v[14:15], off offset:-8
	s_clause 0x1
	global_load_dwordx2 v[43:44], v38, s[52:53]
	global_load_dwordx2 v[45:46], v38, s[50:51]
	s_add_i32 s2, s2, -1
	s_add_u32 s52, s52, -8
	s_addc_u32 s53, s53, -1
	s_add_u32 s50, s50, -8
	s_addc_u32 s51, s51, -1
	s_cmp_eq_u32 s2, 0
	s_waitcnt vmcnt(1)
	v_mul_f64 v[47:48], v[43:44], v[39:40]
	v_mul_f64 v[49:50], v[43:44], v[41:42]
	s_waitcnt vmcnt(0)
	v_mul_f64 v[51:52], v[45:46], v[39:40]
	v_mul_f64 v[53:54], v[45:46], v[41:42]
	v_fma_f64 v[39:40], v[0:1], v[45:46], v[47:48]
	v_fma_f64 v[41:42], v[2:3], v[45:46], v[49:50]
	v_fma_f64 v[0:1], v[0:1], v[43:44], -v[51:52]
	v_fma_f64 v[2:3], v[2:3], v[43:44], -v[53:54]
	global_store_dwordx4 v[14:15], v[39:42], off offset:-8
	v_add_co_u32 v14, vcc_lo, v14, s25
	v_add_co_ci_u32_e64 v15, null, s21, v15, vcc_lo
	s_cbranch_scc0 .LBB20_20
	s_branch .LBB20_18
.LBB20_21:                              ;   in Loop: Header=BB20_4 Depth=1
	s_or_b32 exec_lo, exec_lo, s54
	s_mov_b32 s2, 0
.LBB20_22:                              ;   in Loop: Header=BB20_4 Depth=1
	s_andn2_b32 vcc_lo, exec_lo, s2
	s_cbranch_vccnz .LBB20_29
; %bb.23:                               ;   in Loop: Header=BB20_4 Depth=1
	s_and_saveexec_b32 s54, s0
	s_cbranch_execz .LBB20_28
; %bb.24:                               ;   in Loop: Header=BB20_4 Depth=1
	v_mov_b32_e32 v10, v6
	s_lshl_b64 s[50:51], s[28:29], 4
	v_mov_b32_e32 v9, v5
	v_mov_b32_e32 v11, v4
	s_add_u32 s55, s81, s50
	s_addc_u32 s85, s82, s51
	s_mov_b32 s86, 0
	s_branch .LBB20_26
.LBB20_25:                              ;   in Loop: Header=BB20_26 Depth=2
	v_add_nc_u32_e32 v11, s24, v11
	v_add_co_u32 v9, s2, v9, s36
	v_add_co_ci_u32_e64 v10, null, s37, v10, s2
	v_cmp_le_i32_e32 vcc_lo, s3, v11
	s_waitcnt vmcnt(0)
	global_store_dwordx4 v[12:13], v[0:3], off
	s_or_b32 s86, vcc_lo, s86
	s_andn2_b32 exec_lo, exec_lo, s86
	s_cbranch_execz .LBB20_28
.LBB20_26:                              ;   Parent Loop BB20_4 Depth=1
                                        ; =>  This Loop Header: Depth=2
                                        ;       Child Loop BB20_27 Depth 3
	v_ashrrev_i32_e32 v12, 31, v11
	v_mov_b32_e32 v15, v10
	v_mov_b32_e32 v14, v9
	s_mov_b64 s[50:51], s[16:17]
	s_mov_b64 s[52:53], s[40:41]
	v_lshlrev_b64 v[0:1], 4, v[11:12]
	s_mov_b32 s2, s69
	v_add_co_u32 v12, vcc_lo, s55, v0
	v_add_co_ci_u32_e64 v13, null, s85, v1, vcc_lo
	s_andn2_b32 vcc_lo, exec_lo, s70
	global_load_dwordx4 v[0:3], v[12:13], off
	s_cbranch_vccnz .LBB20_25
	.p2align	6
.LBB20_27:                              ;   Parent Loop BB20_4 Depth=1
                                        ;     Parent Loop BB20_26 Depth=2
                                        ; =>    This Inner Loop Header: Depth=3
	global_load_dwordx4 v[39:42], v[14:15], off offset:-8
	s_clause 0x1
	global_load_dwordx2 v[43:44], v38, s[52:53]
	global_load_dwordx2 v[45:46], v38, s[50:51]
	s_add_i32 s2, s2, -1
	s_add_u32 s52, s52, 8
	s_addc_u32 s53, s53, 0
	s_add_u32 s50, s50, 8
	s_addc_u32 s51, s51, 0
	s_cmp_eq_u32 s2, 0
	s_waitcnt vmcnt(1)
	v_mul_f64 v[47:48], v[43:44], v[39:40]
	v_mul_f64 v[49:50], v[43:44], v[41:42]
	s_waitcnt vmcnt(0)
	v_mul_f64 v[51:52], v[45:46], v[39:40]
	v_mul_f64 v[53:54], v[45:46], v[41:42]
	v_fma_f64 v[39:40], v[0:1], v[45:46], v[47:48]
	v_fma_f64 v[41:42], v[2:3], v[45:46], v[49:50]
	v_fma_f64 v[0:1], v[0:1], v[43:44], -v[51:52]
	v_fma_f64 v[2:3], v[2:3], v[43:44], -v[53:54]
	global_store_dwordx4 v[14:15], v[39:42], off offset:-8
	v_add_co_u32 v14, vcc_lo, v14, s34
	v_add_co_ci_u32_e64 v15, null, s35, v15, vcc_lo
	s_cbranch_scc0 .LBB20_27
	s_branch .LBB20_25
.LBB20_28:                              ;   in Loop: Header=BB20_4 Depth=1
	s_or_b32 exec_lo, exec_lo, s54
.LBB20_29:                              ;   in Loop: Header=BB20_4 Depth=1
	s_mov_b32 s2, 0
.LBB20_30:                              ;   in Loop: Header=BB20_4 Depth=1
	s_andn2_b32 vcc_lo, exec_lo, s2
	s_cbranch_vccnz .LBB20_37
; %bb.31:                               ;   in Loop: Header=BB20_4 Depth=1
	s_and_saveexec_b32 s54, s0
	s_cbranch_execz .LBB20_36
; %bb.32:                               ;   in Loop: Header=BB20_4 Depth=1
	v_mov_b32_e32 v10, v8
	v_mov_b32_e32 v9, v7
	;; [unrolled: 1-line block ×3, first 2 shown]
	s_mov_b32 s55, 0
	s_branch .LBB20_34
.LBB20_33:                              ;   in Loop: Header=BB20_34 Depth=2
	v_add_nc_u32_e32 v11, s24, v11
	v_add_co_u32 v9, s2, v9, s36
	v_add_co_ci_u32_e64 v10, null, s37, v10, s2
	v_cmp_le_i32_e32 vcc_lo, s3, v11
	s_waitcnt vmcnt(0)
	global_store_dwordx4 v[12:13], v[0:3], off
	s_or_b32 s55, vcc_lo, s55
	s_andn2_b32 exec_lo, exec_lo, s55
	s_cbranch_execz .LBB20_36
.LBB20_34:                              ;   Parent Loop BB20_4 Depth=1
                                        ; =>  This Loop Header: Depth=2
                                        ;       Child Loop BB20_35 Depth 3
	v_ashrrev_i32_e32 v12, 31, v11
	v_mov_b32_e32 v15, v10
	v_mov_b32_e32 v14, v9
	s_mov_b64 s[50:51], s[48:49]
	s_mov_b64 s[52:53], s[46:47]
	v_lshlrev_b64 v[0:1], 4, v[11:12]
	s_mov_b32 s2, s76
	v_add_co_u32 v12, vcc_lo, s81, v0
	v_add_co_ci_u32_e64 v13, null, s82, v1, vcc_lo
	s_andn2_b32 vcc_lo, exec_lo, s70
	global_load_dwordx4 v[0:3], v[12:13], off
	s_cbranch_vccnz .LBB20_33
	.p2align	6
.LBB20_35:                              ;   Parent Loop BB20_4 Depth=1
                                        ;     Parent Loop BB20_34 Depth=2
                                        ; =>    This Inner Loop Header: Depth=3
	s_clause 0x1
	global_load_dwordx2 v[43:44], v38, s[50:51]
	global_load_dwordx2 v[45:46], v38, s[52:53]
	global_load_dwordx4 v[39:42], v[14:15], off offset:-8
	s_add_i32 s2, s2, -1
	s_add_u32 s52, s52, -8
	s_addc_u32 s53, s53, -1
	s_add_u32 s50, s50, -8
	s_addc_u32 s51, s51, -1
	s_cmp_lt_u32 s2, 3
	s_waitcnt vmcnt(2)
	v_mul_f64 v[47:48], v[0:1], v[43:44]
	v_mul_f64 v[49:50], v[2:3], v[43:44]
	s_waitcnt vmcnt(0)
	v_mul_f64 v[51:52], v[43:44], v[39:40]
	v_mul_f64 v[43:44], v[43:44], v[41:42]
	v_fma_f64 v[39:40], v[45:46], v[39:40], -v[47:48]
	v_fma_f64 v[41:42], v[45:46], v[41:42], -v[49:50]
	v_fma_f64 v[0:1], v[0:1], v[45:46], v[51:52]
	v_fma_f64 v[2:3], v[2:3], v[45:46], v[43:44]
	global_store_dwordx4 v[14:15], v[39:42], off offset:-8
	v_add_co_u32 v14, vcc_lo, v14, s25
	v_add_co_ci_u32_e64 v15, null, s21, v15, vcc_lo
	s_cbranch_scc0 .LBB20_35
	s_branch .LBB20_33
.LBB20_36:                              ;   in Loop: Header=BB20_4 Depth=1
	s_or_b32 exec_lo, exec_lo, s54
.LBB20_37:                              ;   in Loop: Header=BB20_4 Depth=1
	s_mov_b32 s2, 0
.LBB20_38:                              ;   in Loop: Header=BB20_4 Depth=1
	s_andn2_b32 vcc_lo, exec_lo, s2
	s_cbranch_vccnz .LBB20_45
; %bb.39:                               ;   in Loop: Header=BB20_4 Depth=1
	s_and_saveexec_b32 s54, s0
	s_cbranch_execz .LBB20_44
; %bb.40:                               ;   in Loop: Header=BB20_4 Depth=1
	v_add_co_u32 v9, vcc_lo, v24, s84
	v_add_co_ci_u32_e64 v10, null, s83, v25, vcc_lo
	v_mov_b32_e32 v11, v4
	s_mov_b32 s55, 0
	s_branch .LBB20_42
.LBB20_41:                              ;   in Loop: Header=BB20_42 Depth=2
	v_add_nc_u32_e32 v11, s24, v11
	v_add_co_u32 v9, s2, v9, s36
	v_add_co_ci_u32_e64 v10, null, s37, v10, s2
	v_cmp_le_i32_e32 vcc_lo, s3, v11
	s_waitcnt vmcnt(0)
	global_store_dwordx4 v[12:13], v[0:3], off
	s_or_b32 s55, vcc_lo, s55
	s_andn2_b32 exec_lo, exec_lo, s55
	s_cbranch_execz .LBB20_44
.LBB20_42:                              ;   Parent Loop BB20_4 Depth=1
                                        ; =>  This Loop Header: Depth=2
                                        ;       Child Loop BB20_43 Depth 3
	v_ashrrev_i32_e32 v12, 31, v11
	v_mov_b32_e32 v15, v10
	v_mov_b32_e32 v14, v9
	s_mov_b32 s2, s69
	s_mov_b64 s[50:51], s[40:41]
	v_lshlrev_b64 v[0:1], 4, v[11:12]
	s_mov_b64 s[52:53], s[16:17]
	v_add_co_u32 v12, vcc_lo, s81, v0
	v_add_co_ci_u32_e64 v13, null, s82, v1, vcc_lo
	s_andn2_b32 vcc_lo, exec_lo, s70
	global_load_dwordx4 v[0:3], v[12:13], off
	s_cbranch_vccnz .LBB20_41
	.p2align	6
.LBB20_43:                              ;   Parent Loop BB20_4 Depth=1
                                        ;     Parent Loop BB20_42 Depth=2
                                        ; =>    This Inner Loop Header: Depth=3
	s_clause 0x1
	global_load_dwordx2 v[43:44], v38, s[52:53]
	global_load_dwordx2 v[45:46], v38, s[50:51]
	global_load_dwordx4 v[39:42], v[14:15], off offset:-8
	s_add_u32 s52, s52, 8
	s_addc_u32 s53, s53, 0
	s_add_u32 s50, s50, 8
	s_addc_u32 s51, s51, 0
	s_add_i32 s2, s2, -1
	s_cmp_eq_u32 s2, 0
	s_waitcnt vmcnt(2)
	v_mul_f64 v[47:48], v[0:1], v[43:44]
	v_mul_f64 v[49:50], v[2:3], v[43:44]
	s_waitcnt vmcnt(0)
	v_mul_f64 v[51:52], v[43:44], v[39:40]
	v_mul_f64 v[43:44], v[43:44], v[41:42]
	v_fma_f64 v[39:40], v[45:46], v[39:40], -v[47:48]
	v_fma_f64 v[41:42], v[45:46], v[41:42], -v[49:50]
	v_fma_f64 v[0:1], v[0:1], v[45:46], v[51:52]
	v_fma_f64 v[2:3], v[2:3], v[45:46], v[43:44]
	global_store_dwordx4 v[14:15], v[39:42], off offset:-8
	v_add_co_u32 v14, vcc_lo, v14, s34
	v_add_co_ci_u32_e64 v15, null, s35, v15, vcc_lo
	s_cbranch_scc0 .LBB20_43
	s_branch .LBB20_41
.LBB20_44:                              ;   in Loop: Header=BB20_4 Depth=1
	s_or_b32 exec_lo, exec_lo, s54
.LBB20_45:                              ;   in Loop: Header=BB20_4 Depth=1
	s_mov_b32 s2, 0
.LBB20_46:                              ;   in Loop: Header=BB20_4 Depth=1
	s_andn2_b32 vcc_lo, exec_lo, s2
	s_cbranch_vccnz .LBB20_54
; %bb.47:                               ;   in Loop: Header=BB20_4 Depth=1
	s_and_saveexec_b32 s85, s0
	s_cbranch_execz .LBB20_53
; %bb.48:                               ;   in Loop: Header=BB20_4 Depth=1
	v_add_co_u32 v12, vcc_lo, v16, s84
	v_add_co_ci_u32_e64 v13, null, s83, v17, vcc_lo
	s_lshl_b64 s[50:51], s[28:29], 4
	v_mov_b32_e32 v9, v4
	s_add_u32 s86, s81, s50
	s_addc_u32 s87, s82, s51
	s_mov_b32 s88, 0
	s_branch .LBB20_50
.LBB20_49:                              ;   in Loop: Header=BB20_50 Depth=2
	s_inst_prefetch 0x2
	v_add_nc_u32_e32 v9, s24, v9
	v_add_co_u32 v10, vcc_lo, s81, v10
	v_add_co_ci_u32_e64 v11, null, s82, v11, vcc_lo
	v_add_co_u32 v12, vcc_lo, v12, s36
	v_add_co_ci_u32_e64 v13, null, s37, v13, vcc_lo
	v_cmp_le_i32_e32 vcc_lo, s3, v9
	v_add_co_u32 v7, s2, v7, s36
	v_add_co_ci_u32_e64 v8, null, s37, v8, s2
	s_or_b32 s88, vcc_lo, s88
	s_waitcnt vmcnt(0)
	global_store_dwordx4 v[10:11], v[0:3], off
	s_andn2_b32 exec_lo, exec_lo, s88
	s_cbranch_execz .LBB20_53
.LBB20_50:                              ;   Parent Loop BB20_4 Depth=1
                                        ; =>  This Loop Header: Depth=2
                                        ;       Child Loop BB20_52 Depth 3
	v_ashrrev_i32_e32 v10, 31, v9
	v_lshlrev_b64 v[10:11], 4, v[9:10]
	v_add_co_u32 v0, vcc_lo, s86, v10
	v_add_co_ci_u32_e64 v1, null, s87, v11, vcc_lo
	s_andn2_b32 vcc_lo, exec_lo, s70
	global_load_dwordx4 v[0:3], v[0:1], off
	s_cbranch_vccnz .LBB20_49
; %bb.51:                               ;   in Loop: Header=BB20_50 Depth=2
	s_mov_b64 s[50:51], 0
	s_mov_b64 s[52:53], s[48:49]
	;; [unrolled: 1-line block ×3, first 2 shown]
	s_mov_b32 s2, s69
	s_inst_prefetch 0x1
	.p2align	6
.LBB20_52:                              ;   Parent Loop BB20_4 Depth=1
                                        ;     Parent Loop BB20_50 Depth=2
                                        ; =>    This Inner Loop Header: Depth=3
	v_add_co_u32 v14, vcc_lo, v12, s50
	v_add_co_ci_u32_e64 v15, null, s51, v13, vcc_lo
	s_add_i32 s2, s2, -1
	s_clause 0x1
	global_load_dwordx2 v[43:44], v38, s[54:55]
	global_load_dwordx2 v[45:46], v38, s[52:53]
	global_load_dwordx4 v[39:42], v[14:15], off
	s_waitcnt vmcnt(0)
	v_mul_f64 v[14:15], v[45:46], v[39:40]
	v_mul_f64 v[47:48], v[45:46], v[41:42]
	;; [unrolled: 1-line block ×4, first 2 shown]
	v_fma_f64 v[39:40], v[0:1], v[43:44], -v[14:15]
	v_fma_f64 v[41:42], v[2:3], v[43:44], -v[47:48]
	v_fma_f64 v[0:1], v[0:1], v[45:46], v[49:50]
	v_fma_f64 v[2:3], v[2:3], v[45:46], v[51:52]
	v_add_co_u32 v14, vcc_lo, v7, s50
	s_sub_u32 s50, s50, s34
	v_add_co_ci_u32_e64 v15, null, s51, v8, vcc_lo
	s_subb_u32 s51, s51, s35
	s_add_u32 s54, s54, -8
	s_addc_u32 s55, s55, -1
	s_add_u32 s52, s52, -8
	s_addc_u32 s53, s53, -1
	s_cmp_eq_u32 s2, 0
	global_store_dwordx4 v[14:15], v[39:42], off offset:-8
	s_cbranch_scc0 .LBB20_52
	s_branch .LBB20_49
.LBB20_53:                              ;   in Loop: Header=BB20_4 Depth=1
	s_or_b32 exec_lo, exec_lo, s85
.LBB20_54:                              ;   in Loop: Header=BB20_4 Depth=1
	s_mov_b32 s48, 0
.LBB20_55:                              ;   in Loop: Header=BB20_4 Depth=1
	s_andn2_b32 vcc_lo, exec_lo, s48
	s_cbranch_vccnz .LBB20_62
; %bb.56:                               ;   in Loop: Header=BB20_4 Depth=1
	s_and_saveexec_b32 s50, s0
	s_cbranch_execz .LBB20_61
; %bb.57:                               ;   in Loop: Header=BB20_4 Depth=1
	s_lshl_b64 s[46:47], s[28:29], 4
	v_mov_b32_e32 v7, v4
	s_add_u32 s51, s81, s46
	s_addc_u32 s52, s82, s47
	s_mov_b32 s53, 0
	s_branch .LBB20_59
.LBB20_58:                              ;   in Loop: Header=BB20_59 Depth=2
	v_add_nc_u32_e32 v7, s24, v7
	v_add_co_u32 v8, vcc_lo, s51, v8
	v_add_co_ci_u32_e64 v9, null, s52, v9, vcc_lo
	v_cmp_le_i32_e32 vcc_lo, s3, v7
	v_add_co_u32 v5, s2, v5, s36
	v_add_co_ci_u32_e64 v6, null, s37, v6, s2
	s_or_b32 s53, vcc_lo, s53
	s_waitcnt vmcnt(0)
	global_store_dwordx4 v[8:9], v[0:3], off
	s_andn2_b32 exec_lo, exec_lo, s53
	s_cbranch_execz .LBB20_61
.LBB20_59:                              ;   Parent Loop BB20_4 Depth=1
                                        ; =>  This Loop Header: Depth=2
                                        ;       Child Loop BB20_60 Depth 3
	v_ashrrev_i32_e32 v8, 31, v7
	v_mov_b32_e32 v11, v6
	v_mov_b32_e32 v10, v5
	s_mov_b64 s[46:47], s[16:17]
	s_mov_b64 s[48:49], s[40:41]
	v_lshlrev_b64 v[8:9], 4, v[7:8]
	s_mov_b32 s2, s69
	v_add_co_u32 v0, vcc_lo, s81, v8
	v_add_co_ci_u32_e64 v1, null, s82, v9, vcc_lo
	s_andn2_b32 vcc_lo, exec_lo, s70
	global_load_dwordx4 v[0:3], v[0:1], off
	s_cbranch_vccnz .LBB20_58
	.p2align	6
.LBB20_60:                              ;   Parent Loop BB20_4 Depth=1
                                        ;     Parent Loop BB20_59 Depth=2
                                        ; =>    This Inner Loop Header: Depth=3
	v_add_co_u32 v43, vcc_lo, v10, s34
	v_add_co_ci_u32_e64 v44, null, s35, v11, vcc_lo
	s_add_i32 s2, s2, -1
	global_load_dwordx4 v[12:15], v[43:44], off offset:-8
	s_clause 0x1
	global_load_dwordx2 v[39:40], v38, s[46:47]
	global_load_dwordx2 v[45:46], v38, s[48:49]
	s_add_u32 s48, s48, 8
	s_addc_u32 s49, s49, 0
	s_add_u32 s46, s46, 8
	s_addc_u32 s47, s47, 0
	s_cmp_eq_u32 s2, 0
	s_waitcnt vmcnt(1)
	v_mul_f64 v[41:42], v[39:40], v[12:13]
	v_mul_f64 v[47:48], v[39:40], v[14:15]
	;; [unrolled: 1-line block ×4, first 2 shown]
	s_waitcnt vmcnt(0)
	v_fma_f64 v[39:40], v[0:1], v[45:46], v[41:42]
	v_fma_f64 v[41:42], v[2:3], v[45:46], v[47:48]
	v_fma_f64 v[0:1], v[45:46], v[12:13], -v[49:50]
	v_fma_f64 v[2:3], v[45:46], v[14:15], -v[51:52]
	global_store_dwordx4 v[10:11], v[39:42], off offset:-8
	v_mov_b32_e32 v10, v43
	v_mov_b32_e32 v11, v44
	s_cbranch_scc0 .LBB20_60
	s_branch .LBB20_58
.LBB20_61:                              ;   in Loop: Header=BB20_4 Depth=1
	s_or_b32 exec_lo, exec_lo, s50
.LBB20_62:                              ;   in Loop: Header=BB20_4 Depth=1
	s_mov_b32 s48, 0
.LBB20_63:                              ;   in Loop: Header=BB20_4 Depth=1
	s_andn2_b32 vcc_lo, exec_lo, s48
	s_cbranch_vccnz .LBB20_70
; %bb.64:                               ;   in Loop: Header=BB20_4 Depth=1
	s_and_saveexec_b32 s50, s1
	s_cbranch_execz .LBB20_69
; %bb.65:                               ;   in Loop: Header=BB20_4 Depth=1
	v_add_co_u32 v5, vcc_lo, v28, s84
	v_add_co_ci_u32_e64 v6, null, s83, v29, vcc_lo
	s_lshl_b64 s[46:47], s[26:27], 4
	v_mov_b32_e32 v11, v4
	s_add_u32 s51, s81, s46
	s_addc_u32 s52, s82, s47
	s_mov_b32 s53, 0
	s_branch .LBB20_67
.LBB20_66:                              ;   in Loop: Header=BB20_67 Depth=2
	v_add_nc_u32_e32 v11, s24, v11
	v_add_co_u32 v5, s2, v5, s38
	v_add_co_ci_u32_e64 v6, null, s39, v6, s2
	v_cmp_le_i32_e32 vcc_lo, s56, v11
	s_waitcnt vmcnt(0)
	global_store_dwordx4 v[7:8], v[0:3], off offset:-16
	s_or_b32 s53, vcc_lo, s53
	s_andn2_b32 exec_lo, exec_lo, s53
	s_cbranch_execz .LBB20_69
.LBB20_67:                              ;   Parent Loop BB20_4 Depth=1
                                        ; =>  This Loop Header: Depth=2
                                        ;       Child Loop BB20_68 Depth 3
	v_mad_i64_i32 v[0:1], null, v11, s20, 0
	v_mov_b32_e32 v10, v6
	v_mov_b32_e32 v9, v5
	s_mov_b64 s[46:47], s[44:45]
	s_mov_b64 s[48:49], s[42:43]
	s_mov_b32 s2, s4
	v_lshlrev_b64 v[0:1], 4, v[0:1]
	v_add_co_u32 v7, vcc_lo, s51, v0
	v_add_co_ci_u32_e64 v8, null, s52, v1, vcc_lo
	s_andn2_b32 vcc_lo, exec_lo, s71
	global_load_dwordx4 v[0:3], v[7:8], off offset:-16
	s_cbranch_vccnz .LBB20_66
	.p2align	6
.LBB20_68:                              ;   Parent Loop BB20_4 Depth=1
                                        ;     Parent Loop BB20_67 Depth=2
                                        ; =>    This Inner Loop Header: Depth=3
	global_load_dwordx4 v[12:15], v[9:10], off offset:-8
	s_clause 0x1
	global_load_dwordx2 v[39:40], v38, s[48:49]
	global_load_dwordx2 v[41:42], v38, s[46:47]
	s_add_i32 s2, s2, -1
	s_add_u32 s48, s48, -8
	s_addc_u32 s49, s49, -1
	s_add_u32 s46, s46, -8
	s_addc_u32 s47, s47, -1
	s_cmp_eq_u32 s2, 0
	s_waitcnt vmcnt(1)
	v_mul_f64 v[43:44], v[39:40], v[12:13]
	v_mul_f64 v[45:46], v[39:40], v[14:15]
	s_waitcnt vmcnt(0)
	v_mul_f64 v[47:48], v[41:42], v[12:13]
	v_mul_f64 v[49:50], v[41:42], v[14:15]
	v_fma_f64 v[12:13], v[0:1], v[41:42], v[43:44]
	v_fma_f64 v[14:15], v[2:3], v[41:42], v[45:46]
	v_fma_f64 v[0:1], v[0:1], v[39:40], -v[47:48]
	v_fma_f64 v[2:3], v[2:3], v[39:40], -v[49:50]
	global_store_dwordx4 v[9:10], v[12:15], off offset:-8
	v_add_co_u32 v9, vcc_lo, v9, -16
	v_add_co_ci_u32_e64 v10, null, -1, v10, vcc_lo
	s_cbranch_scc0 .LBB20_68
	s_branch .LBB20_66
.LBB20_69:                              ;   in Loop: Header=BB20_4 Depth=1
	s_or_b32 exec_lo, exec_lo, s50
.LBB20_70:                              ;   in Loop: Header=BB20_4 Depth=1
	s_mov_b32 s48, 0
.LBB20_71:                              ;   in Loop: Header=BB20_4 Depth=1
	s_andn2_b32 vcc_lo, exec_lo, s48
	s_cbranch_vccnz .LBB20_78
; %bb.72:                               ;   in Loop: Header=BB20_4 Depth=1
	s_and_saveexec_b32 s50, s1
	s_cbranch_execz .LBB20_77
; %bb.73:                               ;   in Loop: Header=BB20_4 Depth=1
	v_add_co_u32 v5, vcc_lo, v30, s84
	v_add_co_ci_u32_e64 v6, null, s83, v31, vcc_lo
	s_lshl_b64 s[46:47], s[26:27], 4
	v_mov_b32_e32 v11, v4
	s_add_u32 s51, s81, s46
	s_addc_u32 s52, s82, s47
	s_mov_b32 s53, 0
	s_branch .LBB20_75
.LBB20_74:                              ;   in Loop: Header=BB20_75 Depth=2
	v_add_nc_u32_e32 v11, s24, v11
	v_add_co_u32 v5, s2, v5, s38
	v_add_co_ci_u32_e64 v6, null, s39, v6, s2
	v_cmp_le_i32_e32 vcc_lo, s56, v11
	s_waitcnt vmcnt(0)
	global_store_dwordx4 v[7:8], v[0:3], off offset:-16
	s_or_b32 s53, vcc_lo, s53
	s_andn2_b32 exec_lo, exec_lo, s53
	s_cbranch_execz .LBB20_77
.LBB20_75:                              ;   Parent Loop BB20_4 Depth=1
                                        ; =>  This Loop Header: Depth=2
                                        ;       Child Loop BB20_76 Depth 3
	v_mad_i64_i32 v[0:1], null, v11, s20, 0
	v_mov_b32_e32 v10, v6
	v_mov_b32_e32 v9, v5
	s_mov_b64 s[46:47], s[16:17]
	s_mov_b64 s[48:49], s[40:41]
	s_mov_b32 s2, s4
	v_lshlrev_b64 v[0:1], 4, v[0:1]
	v_add_co_u32 v7, vcc_lo, s51, v0
	v_add_co_ci_u32_e64 v8, null, s52, v1, vcc_lo
	s_andn2_b32 vcc_lo, exec_lo, s71
	global_load_dwordx4 v[0:3], v[7:8], off offset:-16
	s_cbranch_vccnz .LBB20_74
	.p2align	6
.LBB20_76:                              ;   Parent Loop BB20_4 Depth=1
                                        ;     Parent Loop BB20_75 Depth=2
                                        ; =>    This Inner Loop Header: Depth=3
	global_load_dwordx4 v[12:15], v[9:10], off offset:-8
	s_clause 0x1
	global_load_dwordx2 v[39:40], v38, s[48:49]
	global_load_dwordx2 v[41:42], v38, s[46:47]
	s_add_i32 s2, s2, -1
	s_add_u32 s48, s48, 8
	s_addc_u32 s49, s49, 0
	s_add_u32 s46, s46, 8
	s_addc_u32 s47, s47, 0
	s_cmp_eq_u32 s2, 0
	s_waitcnt vmcnt(1)
	v_mul_f64 v[43:44], v[39:40], v[12:13]
	v_mul_f64 v[45:46], v[39:40], v[14:15]
	s_waitcnt vmcnt(0)
	v_mul_f64 v[47:48], v[41:42], v[12:13]
	v_mul_f64 v[49:50], v[41:42], v[14:15]
	v_fma_f64 v[12:13], v[0:1], v[41:42], v[43:44]
	v_fma_f64 v[14:15], v[2:3], v[41:42], v[45:46]
	v_fma_f64 v[0:1], v[0:1], v[39:40], -v[47:48]
	v_fma_f64 v[2:3], v[2:3], v[39:40], -v[49:50]
	global_store_dwordx4 v[9:10], v[12:15], off offset:-8
	v_add_co_u32 v9, vcc_lo, v9, 16
	v_add_co_ci_u32_e64 v10, null, 0, v10, vcc_lo
	s_cbranch_scc0 .LBB20_76
	s_branch .LBB20_74
.LBB20_77:                              ;   in Loop: Header=BB20_4 Depth=1
	s_or_b32 exec_lo, exec_lo, s50
.LBB20_78:                              ;   in Loop: Header=BB20_4 Depth=1
	s_mov_b32 s48, 0
.LBB20_79:                              ;   in Loop: Header=BB20_4 Depth=1
	s_andn2_b32 vcc_lo, exec_lo, s48
	s_cbranch_vccnz .LBB20_86
; %bb.80:                               ;   in Loop: Header=BB20_4 Depth=1
	s_and_saveexec_b32 s50, s1
	s_cbranch_execz .LBB20_85
; %bb.81:                               ;   in Loop: Header=BB20_4 Depth=1
	v_add_co_u32 v5, vcc_lo, v32, s84
	v_add_co_ci_u32_e64 v6, null, s83, v33, vcc_lo
	v_mov_b32_e32 v11, v4
	s_mov_b32 s51, 0
	s_branch .LBB20_83
.LBB20_82:                              ;   in Loop: Header=BB20_83 Depth=2
	v_add_nc_u32_e32 v11, s24, v11
	v_add_co_u32 v5, s2, v5, s38
	v_add_co_ci_u32_e64 v6, null, s39, v6, s2
	v_cmp_le_i32_e32 vcc_lo, s56, v11
	s_waitcnt vmcnt(0)
	global_store_dwordx4 v[7:8], v[0:3], off
	s_or_b32 s51, vcc_lo, s51
	s_andn2_b32 exec_lo, exec_lo, s51
	s_cbranch_execz .LBB20_85
.LBB20_83:                              ;   Parent Loop BB20_4 Depth=1
                                        ; =>  This Loop Header: Depth=2
                                        ;       Child Loop BB20_84 Depth 3
	v_mad_i64_i32 v[0:1], null, v11, s20, 0
	v_mov_b32_e32 v10, v6
	v_mov_b32_e32 v9, v5
	s_mov_b64 s[46:47], s[44:45]
	s_mov_b64 s[48:49], s[42:43]
	s_mov_b32 s2, s5
	v_lshlrev_b64 v[0:1], 4, v[0:1]
	v_add_co_u32 v7, vcc_lo, s81, v0
	v_add_co_ci_u32_e64 v8, null, s82, v1, vcc_lo
	s_andn2_b32 vcc_lo, exec_lo, s71
	global_load_dwordx4 v[0:3], v[7:8], off
	s_cbranch_vccnz .LBB20_82
	.p2align	6
.LBB20_84:                              ;   Parent Loop BB20_4 Depth=1
                                        ;     Parent Loop BB20_83 Depth=2
                                        ; =>    This Inner Loop Header: Depth=3
	s_clause 0x1
	global_load_dwordx2 v[39:40], v38, s[46:47]
	global_load_dwordx2 v[41:42], v38, s[48:49]
	global_load_dwordx4 v[12:15], v[9:10], off offset:-8
	s_add_i32 s2, s2, -1
	s_add_u32 s48, s48, -8
	s_addc_u32 s49, s49, -1
	s_add_u32 s46, s46, -8
	s_addc_u32 s47, s47, -1
	s_cmp_lt_u32 s2, 3
	s_waitcnt vmcnt(2)
	v_mul_f64 v[43:44], v[0:1], v[39:40]
	v_mul_f64 v[45:46], v[2:3], v[39:40]
	s_waitcnt vmcnt(0)
	v_mul_f64 v[47:48], v[39:40], v[12:13]
	v_mul_f64 v[39:40], v[39:40], v[14:15]
	v_fma_f64 v[12:13], v[41:42], v[12:13], -v[43:44]
	v_fma_f64 v[14:15], v[41:42], v[14:15], -v[45:46]
	v_fma_f64 v[0:1], v[0:1], v[41:42], v[47:48]
	v_fma_f64 v[2:3], v[2:3], v[41:42], v[39:40]
	global_store_dwordx4 v[9:10], v[12:15], off offset:-8
	v_add_co_u32 v9, vcc_lo, v9, -16
	v_add_co_ci_u32_e64 v10, null, -1, v10, vcc_lo
	s_cbranch_scc0 .LBB20_84
	s_branch .LBB20_82
.LBB20_85:                              ;   in Loop: Header=BB20_4 Depth=1
	s_or_b32 exec_lo, exec_lo, s50
.LBB20_86:                              ;   in Loop: Header=BB20_4 Depth=1
	s_mov_b32 s48, 0
.LBB20_87:                              ;   in Loop: Header=BB20_4 Depth=1
	s_andn2_b32 vcc_lo, exec_lo, s48
	s_cbranch_vccnz .LBB20_94
; %bb.88:                               ;   in Loop: Header=BB20_4 Depth=1
	s_and_saveexec_b32 s50, s1
	s_cbranch_execz .LBB20_93
; %bb.89:                               ;   in Loop: Header=BB20_4 Depth=1
	v_add_co_u32 v5, vcc_lo, v34, s84
	v_add_co_ci_u32_e64 v6, null, s83, v35, vcc_lo
	v_mov_b32_e32 v11, v4
	s_mov_b32 s51, 0
	s_branch .LBB20_91
.LBB20_90:                              ;   in Loop: Header=BB20_91 Depth=2
	v_add_nc_u32_e32 v11, s24, v11
	v_add_co_u32 v5, s2, v5, s38
	v_add_co_ci_u32_e64 v6, null, s39, v6, s2
	v_cmp_le_i32_e32 vcc_lo, s56, v11
	s_waitcnt vmcnt(0)
	global_store_dwordx4 v[7:8], v[0:3], off
	s_or_b32 s51, vcc_lo, s51
	s_andn2_b32 exec_lo, exec_lo, s51
	s_cbranch_execz .LBB20_93
.LBB20_91:                              ;   Parent Loop BB20_4 Depth=1
                                        ; =>  This Loop Header: Depth=2
                                        ;       Child Loop BB20_92 Depth 3
	v_mad_i64_i32 v[0:1], null, v11, s20, 0
	v_mov_b32_e32 v10, v6
	v_mov_b32_e32 v9, v5
	s_mov_b32 s2, s4
	s_mov_b64 s[46:47], s[40:41]
	s_mov_b64 s[48:49], s[16:17]
	v_lshlrev_b64 v[0:1], 4, v[0:1]
	v_add_co_u32 v7, vcc_lo, s81, v0
	v_add_co_ci_u32_e64 v8, null, s82, v1, vcc_lo
	s_andn2_b32 vcc_lo, exec_lo, s71
	global_load_dwordx4 v[0:3], v[7:8], off
	s_cbranch_vccnz .LBB20_90
	.p2align	6
.LBB20_92:                              ;   Parent Loop BB20_4 Depth=1
                                        ;     Parent Loop BB20_91 Depth=2
                                        ; =>    This Inner Loop Header: Depth=3
	s_clause 0x1
	global_load_dwordx2 v[39:40], v38, s[48:49]
	global_load_dwordx2 v[41:42], v38, s[46:47]
	global_load_dwordx4 v[12:15], v[9:10], off
	s_add_u32 s48, s48, 8
	s_addc_u32 s49, s49, 0
	s_add_u32 s46, s46, 8
	s_addc_u32 s47, s47, 0
	s_add_i32 s2, s2, -1
	s_cmp_eq_u32 s2, 0
	s_waitcnt vmcnt(2)
	v_mul_f64 v[43:44], v[0:1], v[39:40]
	v_mul_f64 v[45:46], v[2:3], v[39:40]
	s_waitcnt vmcnt(0)
	v_mul_f64 v[47:48], v[39:40], v[12:13]
	v_mul_f64 v[39:40], v[39:40], v[14:15]
	v_fma_f64 v[12:13], v[41:42], v[12:13], -v[43:44]
	v_fma_f64 v[14:15], v[41:42], v[14:15], -v[45:46]
	v_fma_f64 v[0:1], v[0:1], v[41:42], v[47:48]
	v_fma_f64 v[2:3], v[2:3], v[41:42], v[39:40]
	global_store_dwordx4 v[9:10], v[12:15], off
	v_add_co_u32 v9, vcc_lo, v9, 16
	v_add_co_ci_u32_e64 v10, null, 0, v10, vcc_lo
	s_cbranch_scc0 .LBB20_92
	s_branch .LBB20_90
.LBB20_93:                              ;   in Loop: Header=BB20_4 Depth=1
	s_or_b32 exec_lo, exec_lo, s50
.LBB20_94:                              ;   in Loop: Header=BB20_4 Depth=1
	s_mov_b32 s48, 0
.LBB20_95:                              ;   in Loop: Header=BB20_4 Depth=1
	s_andn2_b32 vcc_lo, exec_lo, s48
	s_cbranch_vccnz .LBB20_102
; %bb.96:                               ;   in Loop: Header=BB20_4 Depth=1
	s_and_saveexec_b32 s50, s1
	s_cbranch_execz .LBB20_101
; %bb.97:                               ;   in Loop: Header=BB20_4 Depth=1
	v_add_co_u32 v5, vcc_lo, v26, s84
	v_add_co_ci_u32_e64 v6, null, s83, v27, vcc_lo
	s_lshl_b64 s[46:47], s[26:27], 4
	v_mov_b32_e32 v11, v4
	s_add_u32 s51, s81, s46
	s_addc_u32 s52, s82, s47
	s_mov_b32 s53, 0
	s_branch .LBB20_99
.LBB20_98:                              ;   in Loop: Header=BB20_99 Depth=2
	v_add_nc_u32_e32 v11, s24, v11
	v_add_co_u32 v7, vcc_lo, s81, v7
	v_add_co_ci_u32_e64 v8, null, s82, v8, vcc_lo
	v_cmp_le_i32_e32 vcc_lo, s56, v11
	v_add_co_u32 v5, s2, v5, s38
	v_add_co_ci_u32_e64 v6, null, s39, v6, s2
	s_or_b32 s53, vcc_lo, s53
	s_waitcnt vmcnt(0)
	global_store_dwordx4 v[7:8], v[0:3], off
	s_andn2_b32 exec_lo, exec_lo, s53
	s_cbranch_execz .LBB20_101
.LBB20_99:                              ;   Parent Loop BB20_4 Depth=1
                                        ; =>  This Loop Header: Depth=2
                                        ;       Child Loop BB20_100 Depth 3
	v_mad_i64_i32 v[0:1], null, v11, s20, 0
	v_mov_b32_e32 v10, v6
	v_mov_b32_e32 v9, v5
	s_mov_b64 s[46:47], s[44:45]
	s_mov_b64 s[48:49], s[42:43]
	s_mov_b32 s2, s4
	v_lshlrev_b64 v[7:8], 4, v[0:1]
	v_add_co_u32 v0, vcc_lo, s51, v7
	v_add_co_ci_u32_e64 v1, null, s52, v8, vcc_lo
	s_andn2_b32 vcc_lo, exec_lo, s71
	global_load_dwordx4 v[0:3], v[0:1], off offset:-16
	s_cbranch_vccnz .LBB20_98
	.p2align	6
.LBB20_100:                             ;   Parent Loop BB20_4 Depth=1
                                        ;     Parent Loop BB20_99 Depth=2
                                        ; =>    This Inner Loop Header: Depth=3
	global_load_dwordx4 v[12:15], v[9:10], off
	s_clause 0x1
	global_load_dwordx2 v[39:40], v38, s[46:47]
	global_load_dwordx2 v[41:42], v38, s[48:49]
	s_add_i32 s2, s2, -1
	s_add_u32 s48, s48, -8
	s_addc_u32 s49, s49, -1
	s_add_u32 s46, s46, -8
	s_addc_u32 s47, s47, -1
	s_cmp_eq_u32 s2, 0
	s_waitcnt vmcnt(1)
	v_mul_f64 v[43:44], v[39:40], v[12:13]
	v_mul_f64 v[45:46], v[39:40], v[14:15]
	s_waitcnt vmcnt(0)
	v_mul_f64 v[47:48], v[41:42], v[12:13]
	v_mul_f64 v[49:50], v[41:42], v[14:15]
	v_fma_f64 v[12:13], v[0:1], v[41:42], -v[43:44]
	v_fma_f64 v[14:15], v[2:3], v[41:42], -v[45:46]
	v_fma_f64 v[0:1], v[0:1], v[39:40], v[47:48]
	v_fma_f64 v[2:3], v[2:3], v[39:40], v[49:50]
	global_store_dwordx4 v[9:10], v[12:15], off offset:16
	v_add_co_u32 v9, vcc_lo, v9, -16
	v_add_co_ci_u32_e64 v10, null, -1, v10, vcc_lo
	s_cbranch_scc0 .LBB20_100
	s_branch .LBB20_98
.LBB20_101:                             ;   in Loop: Header=BB20_4 Depth=1
	s_or_b32 exec_lo, exec_lo, s50
.LBB20_102:                             ;   in Loop: Header=BB20_4 Depth=1
	s_cbranch_execnz .LBB20_3
.LBB20_103:                             ;   in Loop: Header=BB20_4 Depth=1
	s_and_saveexec_b32 s46, s1
	s_cbranch_execz .LBB20_2
; %bb.104:                              ;   in Loop: Header=BB20_4 Depth=1
	v_add_co_u32 v5, vcc_lo, v36, s84
	v_add_co_ci_u32_e64 v6, null, s83, v37, vcc_lo
	s_lshl_b64 s[42:43], s[26:27], 4
	v_mov_b32_e32 v11, v4
	s_add_u32 s47, s81, s42
	s_addc_u32 s48, s82, s43
	s_mov_b32 s49, 0
	s_branch .LBB20_106
.LBB20_105:                             ;   in Loop: Header=BB20_106 Depth=2
	v_add_nc_u32_e32 v11, s24, v11
	v_add_co_u32 v7, vcc_lo, s47, v7
	v_add_co_ci_u32_e64 v8, null, s48, v8, vcc_lo
	v_cmp_le_i32_e32 vcc_lo, s56, v11
	v_add_co_u32 v5, s2, v5, s38
	v_add_co_ci_u32_e64 v6, null, s39, v6, s2
	s_or_b32 s49, vcc_lo, s49
	s_waitcnt vmcnt(0)
	global_store_dwordx4 v[7:8], v[0:3], off offset:-16
	s_andn2_b32 exec_lo, exec_lo, s49
	s_cbranch_execz .LBB20_2
.LBB20_106:                             ;   Parent Loop BB20_4 Depth=1
                                        ; =>  This Loop Header: Depth=2
                                        ;       Child Loop BB20_107 Depth 3
	v_mad_i64_i32 v[0:1], null, v11, s20, 0
	v_mov_b32_e32 v10, v6
	v_mov_b32_e32 v9, v5
	s_mov_b64 s[42:43], s[40:41]
	s_mov_b64 s[44:45], s[16:17]
	s_mov_b32 s2, s4
	v_lshlrev_b64 v[7:8], 4, v[0:1]
	v_add_co_u32 v0, vcc_lo, s81, v7
	v_add_co_ci_u32_e64 v1, null, s82, v8, vcc_lo
	s_andn2_b32 vcc_lo, exec_lo, s71
	global_load_dwordx4 v[0:3], v[0:1], off
	s_cbranch_vccnz .LBB20_105
	.p2align	6
.LBB20_107:                             ;   Parent Loop BB20_4 Depth=1
                                        ;     Parent Loop BB20_106 Depth=2
                                        ; =>    This Inner Loop Header: Depth=3
	global_load_dwordx4 v[12:15], v[9:10], off offset:-8
	s_clause 0x1
	global_load_dwordx2 v[39:40], v38, s[44:45]
	global_load_dwordx2 v[43:44], v38, s[42:43]
	s_add_i32 s2, s2, -1
	s_add_u32 s44, s44, 8
	s_addc_u32 s45, s45, 0
	s_add_u32 s42, s42, 8
	s_addc_u32 s43, s43, 0
	s_cmp_eq_u32 s2, 0
	s_waitcnt vmcnt(1)
	v_mul_f64 v[41:42], v[39:40], v[12:13]
	v_mul_f64 v[45:46], v[39:40], v[14:15]
	v_mul_f64 v[47:48], v[0:1], v[39:40]
	v_mul_f64 v[49:50], v[2:3], v[39:40]
	s_waitcnt vmcnt(0)
	v_fma_f64 v[39:40], v[0:1], v[43:44], v[41:42]
	v_fma_f64 v[41:42], v[2:3], v[43:44], v[45:46]
	v_fma_f64 v[0:1], v[43:44], v[12:13], -v[47:48]
	v_fma_f64 v[2:3], v[43:44], v[14:15], -v[49:50]
	global_store_dwordx4 v[9:10], v[39:42], off offset:-24
	v_add_co_u32 v9, vcc_lo, v9, 16
	v_add_co_ci_u32_e64 v10, null, 0, v10, vcc_lo
	s_cbranch_scc0 .LBB20_107
	s_branch .LBB20_105
.LBB20_108:
	s_endpgm
	.section	.rodata,"a",@progbits
	.p2align	6, 0x0
	.amdhsa_kernel _ZN9rocsolver6v33100L11lasr_kernelI19rocblas_complex_numIdEdPS3_iEEv13rocblas_side_14rocblas_pivot_15rocblas_direct_T2_S8_PT0_lSA_lT1_lS8_lS8_
		.amdhsa_group_segment_fixed_size 0
		.amdhsa_private_segment_fixed_size 0
		.amdhsa_kernarg_size 352
		.amdhsa_user_sgpr_count 6
		.amdhsa_user_sgpr_private_segment_buffer 1
		.amdhsa_user_sgpr_dispatch_ptr 0
		.amdhsa_user_sgpr_queue_ptr 0
		.amdhsa_user_sgpr_kernarg_segment_ptr 1
		.amdhsa_user_sgpr_dispatch_id 0
		.amdhsa_user_sgpr_flat_scratch_init 0
		.amdhsa_user_sgpr_private_segment_size 0
		.amdhsa_wavefront_size32 1
		.amdhsa_uses_dynamic_stack 0
		.amdhsa_system_sgpr_private_segment_wavefront_offset 0
		.amdhsa_system_sgpr_workgroup_id_x 1
		.amdhsa_system_sgpr_workgroup_id_y 0
		.amdhsa_system_sgpr_workgroup_id_z 1
		.amdhsa_system_sgpr_workgroup_info 0
		.amdhsa_system_vgpr_workitem_id 0
		.amdhsa_next_free_vgpr 55
		.amdhsa_next_free_sgpr 89
		.amdhsa_reserve_vcc 1
		.amdhsa_reserve_flat_scratch 0
		.amdhsa_float_round_mode_32 0
		.amdhsa_float_round_mode_16_64 0
		.amdhsa_float_denorm_mode_32 3
		.amdhsa_float_denorm_mode_16_64 3
		.amdhsa_dx10_clamp 1
		.amdhsa_ieee_mode 1
		.amdhsa_fp16_overflow 0
		.amdhsa_workgroup_processor_mode 1
		.amdhsa_memory_ordered 1
		.amdhsa_forward_progress 1
		.amdhsa_shared_vgpr_count 0
		.amdhsa_exception_fp_ieee_invalid_op 0
		.amdhsa_exception_fp_denorm_src 0
		.amdhsa_exception_fp_ieee_div_zero 0
		.amdhsa_exception_fp_ieee_overflow 0
		.amdhsa_exception_fp_ieee_underflow 0
		.amdhsa_exception_fp_ieee_inexact 0
		.amdhsa_exception_int_div_zero 0
	.end_amdhsa_kernel
	.section	.text._ZN9rocsolver6v33100L11lasr_kernelI19rocblas_complex_numIdEdPS3_iEEv13rocblas_side_14rocblas_pivot_15rocblas_direct_T2_S8_PT0_lSA_lT1_lS8_lS8_,"axG",@progbits,_ZN9rocsolver6v33100L11lasr_kernelI19rocblas_complex_numIdEdPS3_iEEv13rocblas_side_14rocblas_pivot_15rocblas_direct_T2_S8_PT0_lSA_lT1_lS8_lS8_,comdat
.Lfunc_end20:
	.size	_ZN9rocsolver6v33100L11lasr_kernelI19rocblas_complex_numIdEdPS3_iEEv13rocblas_side_14rocblas_pivot_15rocblas_direct_T2_S8_PT0_lSA_lT1_lS8_lS8_, .Lfunc_end20-_ZN9rocsolver6v33100L11lasr_kernelI19rocblas_complex_numIdEdPS3_iEEv13rocblas_side_14rocblas_pivot_15rocblas_direct_T2_S8_PT0_lSA_lT1_lS8_lS8_
                                        ; -- End function
	.set _ZN9rocsolver6v33100L11lasr_kernelI19rocblas_complex_numIdEdPS3_iEEv13rocblas_side_14rocblas_pivot_15rocblas_direct_T2_S8_PT0_lSA_lT1_lS8_lS8_.num_vgpr, 55
	.set _ZN9rocsolver6v33100L11lasr_kernelI19rocblas_complex_numIdEdPS3_iEEv13rocblas_side_14rocblas_pivot_15rocblas_direct_T2_S8_PT0_lSA_lT1_lS8_lS8_.num_agpr, 0
	.set _ZN9rocsolver6v33100L11lasr_kernelI19rocblas_complex_numIdEdPS3_iEEv13rocblas_side_14rocblas_pivot_15rocblas_direct_T2_S8_PT0_lSA_lT1_lS8_lS8_.numbered_sgpr, 89
	.set _ZN9rocsolver6v33100L11lasr_kernelI19rocblas_complex_numIdEdPS3_iEEv13rocblas_side_14rocblas_pivot_15rocblas_direct_T2_S8_PT0_lSA_lT1_lS8_lS8_.num_named_barrier, 0
	.set _ZN9rocsolver6v33100L11lasr_kernelI19rocblas_complex_numIdEdPS3_iEEv13rocblas_side_14rocblas_pivot_15rocblas_direct_T2_S8_PT0_lSA_lT1_lS8_lS8_.private_seg_size, 0
	.set _ZN9rocsolver6v33100L11lasr_kernelI19rocblas_complex_numIdEdPS3_iEEv13rocblas_side_14rocblas_pivot_15rocblas_direct_T2_S8_PT0_lSA_lT1_lS8_lS8_.uses_vcc, 1
	.set _ZN9rocsolver6v33100L11lasr_kernelI19rocblas_complex_numIdEdPS3_iEEv13rocblas_side_14rocblas_pivot_15rocblas_direct_T2_S8_PT0_lSA_lT1_lS8_lS8_.uses_flat_scratch, 0
	.set _ZN9rocsolver6v33100L11lasr_kernelI19rocblas_complex_numIdEdPS3_iEEv13rocblas_side_14rocblas_pivot_15rocblas_direct_T2_S8_PT0_lSA_lT1_lS8_lS8_.has_dyn_sized_stack, 0
	.set _ZN9rocsolver6v33100L11lasr_kernelI19rocblas_complex_numIdEdPS3_iEEv13rocblas_side_14rocblas_pivot_15rocblas_direct_T2_S8_PT0_lSA_lT1_lS8_lS8_.has_recursion, 0
	.set _ZN9rocsolver6v33100L11lasr_kernelI19rocblas_complex_numIdEdPS3_iEEv13rocblas_side_14rocblas_pivot_15rocblas_direct_T2_S8_PT0_lSA_lT1_lS8_lS8_.has_indirect_call, 0
	.section	.AMDGPU.csdata,"",@progbits
; Kernel info:
; codeLenInByte = 5600
; TotalNumSgprs: 91
; NumVgprs: 55
; ScratchSize: 0
; MemoryBound: 0
; FloatMode: 240
; IeeeMode: 1
; LDSByteSize: 0 bytes/workgroup (compile time only)
; SGPRBlocks: 0
; VGPRBlocks: 6
; NumSGPRsForWavesPerEU: 91
; NumVGPRsForWavesPerEU: 55
; Occupancy: 16
; WaveLimiterHint : 0
; COMPUTE_PGM_RSRC2:SCRATCH_EN: 0
; COMPUTE_PGM_RSRC2:USER_SGPR: 6
; COMPUTE_PGM_RSRC2:TRAP_HANDLER: 0
; COMPUTE_PGM_RSRC2:TGID_X_EN: 1
; COMPUTE_PGM_RSRC2:TGID_Y_EN: 0
; COMPUTE_PGM_RSRC2:TGID_Z_EN: 1
; COMPUTE_PGM_RSRC2:TIDIG_COMP_CNT: 0
	.section	.text._ZN9rocsolver6v33100L11swap_kernelI19rocblas_complex_numIdEiEEvT0_PT_S4_S6_S4_,"axG",@progbits,_ZN9rocsolver6v33100L11swap_kernelI19rocblas_complex_numIdEiEEvT0_PT_S4_S6_S4_,comdat
	.globl	_ZN9rocsolver6v33100L11swap_kernelI19rocblas_complex_numIdEiEEvT0_PT_S4_S6_S4_ ; -- Begin function _ZN9rocsolver6v33100L11swap_kernelI19rocblas_complex_numIdEiEEvT0_PT_S4_S6_S4_
	.p2align	8
	.type	_ZN9rocsolver6v33100L11swap_kernelI19rocblas_complex_numIdEiEEvT0_PT_S4_S6_S4_,@function
_ZN9rocsolver6v33100L11swap_kernelI19rocblas_complex_numIdEiEEvT0_PT_S4_S6_S4_: ; @_ZN9rocsolver6v33100L11swap_kernelI19rocblas_complex_numIdEiEEvT0_PT_S4_S6_S4_
; %bb.0:
	s_load_dword s12, s[6:7], 0x0
	s_waitcnt lgkmcnt(0)
	s_cmp_lt_i32 s12, 1
	s_cbranch_scc1 .LBB21_10
; %bb.1:
	s_load_dwordx2 s[10:11], s[4:5], 0x4
	s_clause 0x5
	s_load_dword s0, s[6:7], 0x34
	s_load_dword s1, s[6:7], 0x10
	;; [unrolled: 1-line block ×4, first 2 shown]
	s_load_dwordx2 s[2:3], s[6:7], 0x8
	s_load_dwordx2 s[4:5], s[6:7], 0x18
	s_waitcnt lgkmcnt(0)
	s_lshr_b32 s6, s10, 16
	s_and_b32 s0, s0, 0xffff
	s_mul_i32 s6, s6, s11
	v_mad_u64_u32 v[3:4], null, s8, s0, v[0:1]
	v_mul_lo_u32 v0, s6, v0
	s_cmp_eq_u32 s1, 1
	v_mul_u32_u24_e32 v1, s11, v1
	s_cselect_b32 s7, -1, 0
	s_cmp_eq_u32 s9, 1
	s_mul_i32 s6, s13, s0
	s_cselect_b32 s8, -1, 0
	v_cmp_gt_i32_e64 s0, s12, v3
	v_add3_u32 v2, v0, v1, v2
	s_and_b32 s7, s7, s8
	s_and_b32 vcc_lo, exec_lo, s7
	s_mov_b32 s7, -1
	s_cbranch_vccnz .LBB21_6
; %bb.2:
	s_and_saveexec_b32 s7, s0
	s_cbranch_execz .LBB21_5
; %bb.3:
	v_mad_i64_i32 v[0:1], null, s9, v3, 0
	v_mad_i64_i32 v[4:5], null, s1, v3, 0
	v_lshlrev_b32_e32 v6, 4, v2
	v_mov_b32_e32 v7, v3
	s_mul_hi_i32 s11, s9, s6
	s_mul_i32 s10, s9, s6
	v_lshlrev_b64 v[0:1], 4, v[0:1]
	s_mul_hi_i32 s15, s1, s6
	v_lshlrev_b64 v[4:5], 4, v[4:5]
	s_mul_i32 s14, s1, s6
	s_lshl_b64 s[8:9], s[10:11], 4
	s_lshl_b64 s[10:11], s[14:15], 4
	v_add_co_u32 v0, vcc_lo, s4, v0
	v_add_co_ci_u32_e64 v1, null, s5, v1, vcc_lo
	v_add_co_u32 v4, vcc_lo, s2, v4
	v_add_co_ci_u32_e64 v5, null, s3, v5, vcc_lo
	s_mov_b32 s13, 0
	.p2align	6
.LBB21_4:                               ; =>This Inner Loop Header: Depth=1
	global_load_dwordx4 v[8:11], v[4:5], off
	global_load_dwordx4 v[12:15], v[0:1], off
	v_add_nc_u32_e32 v7, s6, v7
	s_waitcnt vmcnt(1)
	global_store_dwordx4 v[0:1], v[8:11], off
	s_waitcnt vmcnt(0)
	global_store_dwordx4 v[4:5], v[12:15], off
	v_add_co_u32 v0, s1, v0, s8
	v_cmp_le_i32_e32 vcc_lo, s12, v7
	v_add_co_ci_u32_e64 v1, null, s9, v1, s1
	v_add_co_u32 v4, s1, v4, s10
	v_add_co_ci_u32_e64 v5, null, s11, v5, s1
	s_or_b32 s13, vcc_lo, s13
	ds_write2_b64 v6, v[12:13], v[14:15] offset1:1
	s_andn2_b32 exec_lo, exec_lo, s13
	s_cbranch_execnz .LBB21_4
.LBB21_5:
	s_or_b32 exec_lo, exec_lo, s7
	s_mov_b32 s7, 0
.LBB21_6:
	s_andn2_b32 vcc_lo, exec_lo, s7
	s_cbranch_vccnz .LBB21_10
; %bb.7:
	s_and_saveexec_b32 s1, s0
	s_cbranch_execz .LBB21_10
; %bb.8:
	v_ashrrev_i32_e32 v4, 31, v3
	v_lshl_add_u32 v2, v2, 4, 0x4000
	s_ashr_i32 s7, s6, 31
	s_mov_b32 s1, 0
	s_lshl_b64 s[8:9], s[6:7], 4
	v_lshlrev_b64 v[0:1], 4, v[3:4]
	.p2align	6
.LBB21_9:                               ; =>This Inner Loop Header: Depth=1
	v_add_co_u32 v12, vcc_lo, s4, v0
	v_add_co_ci_u32_e64 v13, null, s5, v1, vcc_lo
	v_add_co_u32 v14, vcc_lo, s2, v0
	v_add_co_ci_u32_e64 v15, null, s3, v1, vcc_lo
	global_load_dwordx4 v[4:7], v[12:13], off
	global_load_dwordx4 v[8:11], v[14:15], off
	v_add_nc_u32_e32 v3, s6, v3
	v_add_co_u32 v0, s0, v0, s8
	v_add_co_ci_u32_e64 v1, null, s9, v1, s0
	v_cmp_le_i32_e32 vcc_lo, s12, v3
	s_or_b32 s1, vcc_lo, s1
	s_waitcnt vmcnt(1)
	ds_write2_b64 v2, v[4:5], v[6:7] offset1:1
	s_waitcnt vmcnt(0)
	global_store_dwordx4 v[12:13], v[8:11], off
	global_store_dwordx4 v[14:15], v[4:7], off
	s_andn2_b32 exec_lo, exec_lo, s1
	s_cbranch_execnz .LBB21_9
.LBB21_10:
	s_endpgm
	.section	.rodata,"a",@progbits
	.p2align	6, 0x0
	.amdhsa_kernel _ZN9rocsolver6v33100L11swap_kernelI19rocblas_complex_numIdEiEEvT0_PT_S4_S6_S4_
		.amdhsa_group_segment_fixed_size 32768
		.amdhsa_private_segment_fixed_size 0
		.amdhsa_kernarg_size 296
		.amdhsa_user_sgpr_count 8
		.amdhsa_user_sgpr_private_segment_buffer 1
		.amdhsa_user_sgpr_dispatch_ptr 1
		.amdhsa_user_sgpr_queue_ptr 0
		.amdhsa_user_sgpr_kernarg_segment_ptr 1
		.amdhsa_user_sgpr_dispatch_id 0
		.amdhsa_user_sgpr_flat_scratch_init 0
		.amdhsa_user_sgpr_private_segment_size 0
		.amdhsa_wavefront_size32 1
		.amdhsa_uses_dynamic_stack 0
		.amdhsa_system_sgpr_private_segment_wavefront_offset 0
		.amdhsa_system_sgpr_workgroup_id_x 1
		.amdhsa_system_sgpr_workgroup_id_y 0
		.amdhsa_system_sgpr_workgroup_id_z 0
		.amdhsa_system_sgpr_workgroup_info 0
		.amdhsa_system_vgpr_workitem_id 2
		.amdhsa_next_free_vgpr 16
		.amdhsa_next_free_sgpr 16
		.amdhsa_reserve_vcc 1
		.amdhsa_reserve_flat_scratch 0
		.amdhsa_float_round_mode_32 0
		.amdhsa_float_round_mode_16_64 0
		.amdhsa_float_denorm_mode_32 3
		.amdhsa_float_denorm_mode_16_64 3
		.amdhsa_dx10_clamp 1
		.amdhsa_ieee_mode 1
		.amdhsa_fp16_overflow 0
		.amdhsa_workgroup_processor_mode 1
		.amdhsa_memory_ordered 1
		.amdhsa_forward_progress 1
		.amdhsa_shared_vgpr_count 0
		.amdhsa_exception_fp_ieee_invalid_op 0
		.amdhsa_exception_fp_denorm_src 0
		.amdhsa_exception_fp_ieee_div_zero 0
		.amdhsa_exception_fp_ieee_overflow 0
		.amdhsa_exception_fp_ieee_underflow 0
		.amdhsa_exception_fp_ieee_inexact 0
		.amdhsa_exception_int_div_zero 0
	.end_amdhsa_kernel
	.section	.text._ZN9rocsolver6v33100L11swap_kernelI19rocblas_complex_numIdEiEEvT0_PT_S4_S6_S4_,"axG",@progbits,_ZN9rocsolver6v33100L11swap_kernelI19rocblas_complex_numIdEiEEvT0_PT_S4_S6_S4_,comdat
.Lfunc_end21:
	.size	_ZN9rocsolver6v33100L11swap_kernelI19rocblas_complex_numIdEiEEvT0_PT_S4_S6_S4_, .Lfunc_end21-_ZN9rocsolver6v33100L11swap_kernelI19rocblas_complex_numIdEiEEvT0_PT_S4_S6_S4_
                                        ; -- End function
	.set _ZN9rocsolver6v33100L11swap_kernelI19rocblas_complex_numIdEiEEvT0_PT_S4_S6_S4_.num_vgpr, 16
	.set _ZN9rocsolver6v33100L11swap_kernelI19rocblas_complex_numIdEiEEvT0_PT_S4_S6_S4_.num_agpr, 0
	.set _ZN9rocsolver6v33100L11swap_kernelI19rocblas_complex_numIdEiEEvT0_PT_S4_S6_S4_.numbered_sgpr, 16
	.set _ZN9rocsolver6v33100L11swap_kernelI19rocblas_complex_numIdEiEEvT0_PT_S4_S6_S4_.num_named_barrier, 0
	.set _ZN9rocsolver6v33100L11swap_kernelI19rocblas_complex_numIdEiEEvT0_PT_S4_S6_S4_.private_seg_size, 0
	.set _ZN9rocsolver6v33100L11swap_kernelI19rocblas_complex_numIdEiEEvT0_PT_S4_S6_S4_.uses_vcc, 1
	.set _ZN9rocsolver6v33100L11swap_kernelI19rocblas_complex_numIdEiEEvT0_PT_S4_S6_S4_.uses_flat_scratch, 0
	.set _ZN9rocsolver6v33100L11swap_kernelI19rocblas_complex_numIdEiEEvT0_PT_S4_S6_S4_.has_dyn_sized_stack, 0
	.set _ZN9rocsolver6v33100L11swap_kernelI19rocblas_complex_numIdEiEEvT0_PT_S4_S6_S4_.has_recursion, 0
	.set _ZN9rocsolver6v33100L11swap_kernelI19rocblas_complex_numIdEiEEvT0_PT_S4_S6_S4_.has_indirect_call, 0
	.section	.AMDGPU.csdata,"",@progbits
; Kernel info:
; codeLenInByte = 632
; TotalNumSgprs: 18
; NumVgprs: 16
; ScratchSize: 0
; MemoryBound: 0
; FloatMode: 240
; IeeeMode: 1
; LDSByteSize: 32768 bytes/workgroup (compile time only)
; SGPRBlocks: 0
; VGPRBlocks: 1
; NumSGPRsForWavesPerEU: 18
; NumVGPRsForWavesPerEU: 16
; Occupancy: 16
; WaveLimiterHint : 0
; COMPUTE_PGM_RSRC2:SCRATCH_EN: 0
; COMPUTE_PGM_RSRC2:USER_SGPR: 8
; COMPUTE_PGM_RSRC2:TRAP_HANDLER: 0
; COMPUTE_PGM_RSRC2:TGID_X_EN: 1
; COMPUTE_PGM_RSRC2:TGID_Y_EN: 0
; COMPUTE_PGM_RSRC2:TGID_Z_EN: 0
; COMPUTE_PGM_RSRC2:TIDIG_COMP_CNT: 2
	.section	.text._ZN9rocsolver6v33100L12steqr_kernelI19rocblas_complex_numIdEdPS3_EEviPT0_lS6_lT1_iilPiS6_iS5_S5_S5_,"axG",@progbits,_ZN9rocsolver6v33100L12steqr_kernelI19rocblas_complex_numIdEdPS3_EEviPT0_lS6_lT1_iilPiS6_iS5_S5_S5_,comdat
	.globl	_ZN9rocsolver6v33100L12steqr_kernelI19rocblas_complex_numIdEdPS3_EEviPT0_lS6_lT1_iilPiS6_iS5_S5_S5_ ; -- Begin function _ZN9rocsolver6v33100L12steqr_kernelI19rocblas_complex_numIdEdPS3_EEviPT0_lS6_lT1_iilPiS6_iS5_S5_S5_
	.p2align	8
	.type	_ZN9rocsolver6v33100L12steqr_kernelI19rocblas_complex_numIdEdPS3_EEviPT0_lS6_lT1_iilPiS6_iS5_S5_S5_,@function
_ZN9rocsolver6v33100L12steqr_kernelI19rocblas_complex_numIdEdPS3_EEviPT0_lS6_lT1_iilPiS6_iS5_S5_S5_: ; @_ZN9rocsolver6v33100L12steqr_kernelI19rocblas_complex_numIdEdPS3_EEviPT0_lS6_lT1_iilPiS6_iS5_S5_S5_
; %bb.0:
	s_clause 0x1
	s_load_dword s0, s[6:7], 0x7c
	s_load_dword s1, s[6:7], 0x70
	s_mov_b32 s30, s9
	s_waitcnt lgkmcnt(0)
	s_and_b32 s24, s0, 0xffff
	v_mad_u64_u32 v[7:8], null, s8, s24, v[0:1]
	v_cmp_eq_u32_e64 s0, 0, v7
	s_and_saveexec_b32 s2, s0
; %bb.1:
	v_mov_b32_e32 v3, 0
	ds_write2_b32 v3, v3, v3 offset0:6 offset1:9
; %bb.2:
	s_or_b32 exec_lo, exec_lo, s2
	s_load_dwordx8 s[16:23], s[6:7], 0x8
	v_mov_b32_e32 v9, 0
	s_load_dword s28, s[6:7], 0x0
	s_waitcnt lgkmcnt(0)
	s_barrier
	buffer_gl0_inv
	ds_read2_b32 v[3:4], v9 offset0:6 offset1:9
	s_clause 0x2
	s_load_dword s33, s[6:7], 0x50
	s_load_dwordx8 s[8:15], s[6:7], 0x28
	s_load_dwordx2 s[2:3], s[6:7], 0x48
	s_ashr_i32 s31, s30, 31
	s_mul_i32 s34, s1, s24
	s_mul_hi_u32 s1, s18, s30
	s_mul_i32 s24, s18, s31
	s_mul_i32 s19, s19, s30
	s_add_i32 s1, s1, s24
	s_mul_i32 s18, s18, s30
	s_add_i32 s19, s1, s19
	s_mul_hi_u32 s25, s22, s30
	s_mul_i32 s26, s22, s31
	s_mul_i32 s27, s23, s30
	;; [unrolled: 1-line block ×3, first 2 shown]
	s_lshl_b64 s[22:23], s[18:19], 3
	s_waitcnt lgkmcnt(0)
	v_cmp_gt_i32_e32 vcc_lo, s28, v3
	v_cmp_gt_i32_e64 s1, s33, v4
	s_add_u32 s18, s16, s22
	s_addc_u32 s19, s17, s23
	s_add_i32 s25, s25, s26
	s_mul_hi_u32 s24, s12, s30
	s_add_i32 s41, s25, s27
	s_mul_i32 s25, s12, s31
	v_readfirstlane_b32 s62, v3
	s_and_b32 s1, vcc_lo, s1
	s_add_i32 s24, s24, s25
	s_mul_i32 s13, s13, s30
	s_ashr_i32 s37, s10, 31
	s_mov_b32 s36, s10
	s_add_i32 s13, s24, s13
	s_mul_i32 s12, s12, s30
	s_andn2_b32 vcc_lo, exec_lo, s1
	s_add_i32 s38, s28, -1
	s_cbranch_vccnz .LBB22_231
; %bb.3:
	s_lshl_b64 s[42:43], s[40:41], 3
	s_lshl_b32 s1, s28, 1
	s_add_u32 s10, s20, s42
	s_addc_u32 s72, s21, s43
	s_lshl_b64 s[54:55], s[12:13], 4
	s_clause 0x1
	s_load_dwordx4 s[24:27], s[6:7], 0x58
	s_load_dwordx2 s[6:7], s[6:7], 0x68
	s_add_u32 s29, s8, s54
	s_addc_u32 s35, s9, s55
	s_lshl_b64 s[56:57], s[36:37], 4
	s_mul_hi_i32 s43, s1, s30
	s_mul_i32 s42, s1, s30
	s_add_u32 s73, s29, s56
	s_addc_u32 s74, s35, s57
	s_lshl_b64 s[48:49], s[42:43], 3
	v_ashrrev_i32_e32 v8, 31, v7
	s_add_u32 s75, s2, s48
	s_addc_u32 s76, s3, s49
	s_ashr_i32 s29, s28, 31
	s_ashr_i32 s43, s11, 31
	s_add_u32 s77, s16, s22
	s_addc_u32 s78, s17, s23
	s_add_u32 s79, s77, 8
	s_addc_u32 s80, s78, 0
	s_ashr_i32 s35, s34, 31
	s_lshl_b64 s[44:45], s[28:29], 3
	s_lshl_b64 s[46:47], s[34:35], 3
	s_add_u32 s29, s48, s44
	s_addc_u32 s39, s49, s45
	s_add_u32 s2, s2, s29
	s_addc_u32 s3, s3, s39
	s_add_u32 s48, s2, -16
	s_addc_u32 s49, s3, -1
	s_waitcnt lgkmcnt(0)
	v_mul_f64 v[11:12], s[24:25], s[24:25]
	s_add_u32 s50, s75, -8
	s_addc_u32 s51, s76, -1
	s_add_u32 s52, s10, -8
	s_addc_u32 s53, s72, -1
	s_add_u32 s29, s44, -8
	v_lshlrev_b64 v[3:4], 4, v[7:8]
	s_addc_u32 s81, s45, -1
	s_add_u32 s2, s54, s56
	s_addc_u32 s3, s55, s57
	s_add_u32 s2, s8, s2
	s_addc_u32 s3, s9, s3
	v_add_co_u32 v3, vcc_lo, s2, v3
	v_add_co_ci_u32_e64 v4, null, s3, v4, vcc_lo
	s_mov_b32 s42, s11
	v_add_co_u32 v8, vcc_lo, v3, 8
	s_lshl_b64 s[54:55], s[42:43], 4
	s_lshl_b64 s[56:57], s[34:35], 4
	v_cmp_gt_i32_e64 s1, s28, v7
	v_add_co_ci_u32_e64 v58, null, 0, v4, vcc_lo
	s_sub_u32 s35, 0, s54
	s_subb_u32 s82, 0, s55
	s_add_u32 s83, s77, -8
	s_mov_b32 s60, 0x667f3bcd
	s_addc_u32 s84, s78, -1
	s_mov_b32 s59, 0
	s_mov_b32 s61, 0x3ff6a09e
                                        ; implicit-def: $vgpr61
                                        ; implicit-def: $vgpr21_vgpr22
                                        ; implicit-def: $vgpr23_vgpr24
                                        ; implicit-def: $vgpr25_vgpr26
                                        ; implicit-def: $vgpr13_vgpr14
                                        ; implicit-def: $vgpr60
                                        ; implicit-def: $vgpr19_vgpr20
                                        ; implicit-def: $vgpr59
                                        ; implicit-def: $vgpr15_vgpr16
                                        ; implicit-def: $vgpr17_vgpr18
	s_branch .LBB22_7
.LBB22_4:                               ;   in Loop: Header=BB22_7 Depth=1
	s_or_b32 exec_lo, exec_lo, s3
.LBB22_5:                               ;   in Loop: Header=BB22_7 Depth=1
	s_waitcnt_vscnt null, 0x0
	s_barrier
	buffer_gl0_inv
.LBB22_6:                               ;   in Loop: Header=BB22_7 Depth=1
	ds_read2_b32 v[3:4], v9 offset0:6 offset1:9
	s_waitcnt lgkmcnt(0)
	v_cmp_gt_i32_e32 vcc_lo, s28, v3
	v_cmp_gt_i32_e64 s2, s33, v4
	v_readfirstlane_b32 s62, v3
	s_and_b32 s2, vcc_lo, s2
	s_andn2_b32 vcc_lo, exec_lo, s2
	s_cbranch_vccnz .LBB22_231
.LBB22_7:                               ; =>This Loop Header: Depth=1
                                        ;     Child Loop BB22_15 Depth 2
                                        ;     Child Loop BB22_28 Depth 2
	;; [unrolled: 1-line block ×5, first 2 shown]
                                        ;       Child Loop BB22_157 Depth 3
                                        ;       Child Loop BB22_177 Depth 3
	;; [unrolled: 1-line block ×3, first 2 shown]
                                        ;         Child Loop BB22_229 Depth 4
                                        ;     Child Loop BB22_68 Depth 2
                                        ;       Child Loop BB22_75 Depth 3
                                        ;       Child Loop BB22_95 Depth 3
	;; [unrolled: 1-line block ×3, first 2 shown]
                                        ;         Child Loop BB22_147 Depth 4
                                        ;     Child Loop BB22_58 Depth 2
                                        ;     Child Loop BB22_65 Depth 2
	s_and_saveexec_b32 s58, s0
	s_cbranch_execz .LBB22_31
; %bb.8:                                ;   in Loop: Header=BB22_7 Depth=1
	s_cmp_lt_i32 s62, 1
	s_cbranch_scc1 .LBB22_10
; %bb.9:                                ;   in Loop: Header=BB22_7 Depth=1
	s_mov_b32 s63, s59
	v_mov_b32_e32 v10, v9
	s_lshl_b64 s[2:3], s[62:63], 3
	s_add_u32 s2, s10, s2
	s_addc_u32 s3, s72, s3
	global_store_dwordx2 v9, v[9:10], s[2:3] offset:-8
.LBB22_10:                              ;   in Loop: Header=BB22_7 Depth=1
	s_mov_b32 s2, -1
	s_mov_b32 s68, 0
	s_cmp_lt_i32 s62, s38
	s_mov_b32 s85, 0
	s_cbranch_scc1 .LBB22_12
; %bb.11:                               ;   in Loop: Header=BB22_7 Depth=1
	s_ashr_i32 s63, s62, 31
	s_mov_b32 s2, 0
	s_mov_b32 s85, -1
.LBB22_12:                              ;   in Loop: Header=BB22_7 Depth=1
	s_andn2_b32 vcc_lo, exec_lo, s2
	s_cbranch_vccnz .LBB22_17
; %bb.13:                               ;   in Loop: Header=BB22_7 Depth=1
	s_ashr_i32 s63, s62, 31
	s_lshl_b64 s[2:3], s[62:63], 3
	s_mov_b64 s[68:69], s[62:63]
	s_add_u32 s70, s10, s2
	s_addc_u32 s71, s72, s3
	s_add_u32 s66, s79, s2
	s_addc_u32 s67, s80, s3
	s_branch .LBB22_15
.LBB22_14:                              ;   in Loop: Header=BB22_15 Depth=2
	s_andn2_b32 vcc_lo, exec_lo, s86
	s_cbranch_vccz .LBB22_18
.LBB22_15:                              ;   Parent Loop BB22_7 Depth=1
                                        ; =>  This Inner Loop Header: Depth=2
	s_clause 0x1
	global_load_dwordx4 v[3:6], v9, s[66:67] offset:-8
	global_load_dwordx2 v[21:22], v9, s[70:71]
	s_mov_b64 s[64:65], s[70:71]
	s_mov_b32 s86, -1
	s_waitcnt vmcnt(1)
	v_cmp_gt_f64_e64 s2, 0x10000000, |v[3:4]|
	v_cmp_gt_f64_e64 s3, 0x10000000, |v[5:6]|
	s_and_b32 s2, s2, exec_lo
	s_cselect_b32 s2, 0x100, 0
	s_cselect_b32 s39, 0xffffff80, 0
	s_and_b32 s3, s3, exec_lo
	s_cselect_b32 s3, 0x100, 0
	v_ldexp_f64 v[3:4], |v[3:4]|, s2
	v_ldexp_f64 v[5:6], |v[5:6]|, s3
	s_cselect_b32 s2, 0xffffff80, 0
	v_rsq_f64_e32 v[23:24], v[3:4]
	v_rsq_f64_e32 v[25:26], v[5:6]
	v_cmp_class_f64_e64 vcc_lo, v[3:4], 0x260
	v_mul_f64 v[27:28], v[3:4], v[23:24]
	v_mul_f64 v[23:24], v[23:24], 0.5
	v_mul_f64 v[29:30], v[5:6], v[25:26]
	v_mul_f64 v[25:26], v[25:26], 0.5
	v_fma_f64 v[31:32], -v[23:24], v[27:28], 0.5
	v_fma_f64 v[33:34], -v[25:26], v[29:30], 0.5
	v_fma_f64 v[27:28], v[27:28], v[31:32], v[27:28]
	v_fma_f64 v[23:24], v[23:24], v[31:32], v[23:24]
	;; [unrolled: 1-line block ×4, first 2 shown]
	v_fma_f64 v[31:32], -v[27:28], v[27:28], v[3:4]
	v_fma_f64 v[33:34], -v[29:30], v[29:30], v[5:6]
	v_fma_f64 v[27:28], v[31:32], v[23:24], v[27:28]
	v_fma_f64 v[29:30], v[33:34], v[25:26], v[29:30]
	v_fma_f64 v[31:32], -v[27:28], v[27:28], v[3:4]
	v_fma_f64 v[33:34], -v[29:30], v[29:30], v[5:6]
	v_fma_f64 v[23:24], v[31:32], v[23:24], v[27:28]
	v_fma_f64 v[25:26], v[33:34], v[25:26], v[29:30]
	v_ldexp_f64 v[23:24], v[23:24], s39
	s_mov_b32 s39, -1
	v_ldexp_f64 v[25:26], v[25:26], s2
	v_cmp_class_f64_e64 s2, v[5:6], 0x260
	v_cndmask_b32_e32 v4, v24, v4, vcc_lo
	v_cndmask_b32_e32 v3, v23, v3, vcc_lo
	v_cndmask_b32_e64 v6, v26, v6, s2
	v_cndmask_b32_e64 v5, v25, v5, s2
	s_mov_b64 s[2:3], s[68:69]
                                        ; implicit-def: $sgpr68_sgpr69
	v_mul_f64 v[3:4], v[3:4], v[5:6]
	v_mul_f64 v[3:4], s[24:25], v[3:4]
	s_waitcnt vmcnt(0)
	v_cmp_nle_f64_e64 s70, |v[21:22]|, v[3:4]
	s_and_b32 vcc_lo, exec_lo, s70
                                        ; implicit-def: $sgpr70_sgpr71
	s_cbranch_vccz .LBB22_14
; %bb.16:                               ;   in Loop: Header=BB22_15 Depth=2
	s_add_u32 s68, s2, 1
	s_addc_u32 s69, s3, 0
	s_add_u32 s70, s64, 8
	s_addc_u32 s71, s65, 0
	;; [unrolled: 2-line block ×3, first 2 shown]
	s_cmp_ge_i32 s68, s38
	s_mov_b32 s39, 0
	s_cselect_b32 s86, -1, 0
	s_branch .LBB22_14
.LBB22_17:                              ;   in Loop: Header=BB22_7 Depth=1
	s_mov_b32 s2, s62
	s_mov_b64 s[66:67], s[62:63]
	s_and_b32 vcc_lo, exec_lo, s85
	s_cbranch_vccnz .LBB22_21
	s_branch .LBB22_22
.LBB22_18:                              ;   in Loop: Header=BB22_7 Depth=1
	s_xor_b32 s39, s39, -1
	s_mov_b32 s68, -1
	s_and_b32 vcc_lo, exec_lo, s39
                                        ; implicit-def: $sgpr66_sgpr67
	s_cbranch_vccz .LBB22_20
; %bb.19:                               ;   in Loop: Header=BB22_7 Depth=1
	s_ashr_i32 s39, s38, 31
	s_mov_b32 s85, -1
	s_mov_b32 s68, 0
	s_mov_b64 s[66:67], s[38:39]
.LBB22_20:                              ;   in Loop: Header=BB22_7 Depth=1
	v_mov_b32_e32 v22, s3
	v_mov_b32_e32 v23, s64
	;; [unrolled: 1-line block ×7, first 2 shown]
	s_mov_b32 s2, s38
	s_and_b32 vcc_lo, exec_lo, s85
	s_cbranch_vccz .LBB22_22
.LBB22_21:                              ;   in Loop: Header=BB22_7 Depth=1
	v_mov_b32_e32 v3, s2
	ds_write_b32 v9, v3 offset:20
.LBB22_22:                              ;   in Loop: Header=BB22_7 Depth=1
	v_mov_b32_e32 v3, s62
	v_mov_b32_e32 v5, s66
	;; [unrolled: 1-line block ×5, first 2 shown]
	s_andn2_b32 vcc_lo, exec_lo, s68
	s_cbranch_vccnz .LBB22_24
; %bb.23:                               ;   in Loop: Header=BB22_7 Depth=1
	v_mov_b32_e32 v3, v25
	v_mov_b32_e32 v5, v21
	;; [unrolled: 1-line block ×6, first 2 shown]
	ds_write_b32 v9, v61 offset:20
	global_store_dwordx2 v[23:24], v[9:10], off
.LBB22_24:                              ;   in Loop: Header=BB22_7 Depth=1
	v_lshlrev_b64 v[5:6], 3, v[5:6]
	v_lshlrev_b64 v[27:28], 3, v[3:4]
	v_add_co_u32 v3, vcc_lo, s18, v5
	v_add_co_ci_u32_e64 v4, null, s19, v6, vcc_lo
	v_add_co_u32 v5, vcc_lo, s18, v27
	v_add_co_ci_u32_e64 v6, null, s19, v28, vcc_lo
	s_clause 0x1
	global_load_dwordx2 v[3:4], v[3:4], off
	global_load_dwordx2 v[5:6], v[5:6], off
	s_waitcnt vmcnt(0)
	v_cmp_lt_f64_e64 s3, |v[3:4]|, |v[5:6]|
	v_mov_b32_e32 v6, s62
	v_add_nc_u32_e32 v5, 1, v29
	ds_write_b32 v9, v6 offset:16
	ds_write2_b32 v9, v29, v29 offset0:8 offset1:10
	ds_write_b64 v9, v[5:6] offset:24
	s_and_saveexec_b32 s2, s3
; %bb.25:                               ;   in Loop: Header=BB22_7 Depth=1
	v_mov_b32_e32 v5, s62
	ds_write2_b32 v9, v29, v5 offset0:4 offset1:8
; %bb.26:                               ;   in Loop: Header=BB22_7 Depth=1
	s_or_b32 exec_lo, exec_lo, s2
	v_and_b32_e32 v4, 0x7fffffff, v4
	s_mov_b32 s3, exec_lo
	v_cmpx_lt_i32_e64 s62, v29
	s_cbranch_execz .LBB22_30
; %bb.27:                               ;   in Loop: Header=BB22_7 Depth=1
	v_add_co_u32 v5, vcc_lo, s77, v27
	v_add_co_ci_u32_e64 v6, null, s78, v28, vcc_lo
	v_add_co_u32 v27, vcc_lo, s10, v27
	v_add_co_ci_u32_e64 v28, null, s72, v28, vcc_lo
	s_mov_b32 s39, 0
	.p2align	6
.LBB22_28:                              ;   Parent Loop BB22_7 Depth=1
                                        ; =>  This Inner Loop Header: Depth=2
	global_load_dwordx2 v[30:31], v[27:28], off
	global_load_dwordx2 v[32:33], v[5:6], off
	v_max_f64 v[3:4], v[3:4], v[3:4]
	s_add_i32 s62, s62, 1
	v_add_co_u32 v5, vcc_lo, v5, 8
	v_add_co_ci_u32_e64 v6, null, 0, v6, vcc_lo
	v_cmp_ge_i32_e32 vcc_lo, s62, v29
	v_add_co_u32 v27, s2, v27, 8
	v_add_co_ci_u32_e64 v28, null, 0, v28, s2
	s_or_b32 s39, vcc_lo, s39
	s_waitcnt vmcnt(1)
	v_max_f64 v[30:31], |v[30:31]|, |v[30:31]|
	s_waitcnt vmcnt(0)
	v_max_f64 v[32:33], |v[32:33]|, |v[32:33]|
	v_max_f64 v[30:31], v[32:33], v[30:31]
	v_max_f64 v[3:4], v[3:4], v[30:31]
	s_andn2_b32 exec_lo, exec_lo, s39
	s_cbranch_execnz .LBB22_28
; %bb.29:                               ;   in Loop: Header=BB22_7 Depth=1
	s_or_b32 exec_lo, exec_lo, s39
.LBB22_30:                              ;   in Loop: Header=BB22_7 Depth=1
	s_or_b32 exec_lo, exec_lo, s3
	ds_write_b64 v9, v[3:4] offset:8
.LBB22_31:                              ;   in Loop: Header=BB22_7 Depth=1
	s_or_b32 exec_lo, exec_lo, s58
	s_waitcnt lgkmcnt(0)
	s_waitcnt_vscnt null, 0x0
	s_barrier
	buffer_gl0_inv
	ds_read_b64 v[3:4], v9 offset:8
	ds_read2_b32 v[5:6], v9 offset0:4 offset1:8
	s_waitcnt lgkmcnt(1)
	v_cmp_eq_f64_e32 vcc_lo, 0, v[3:4]
	s_waitcnt lgkmcnt(0)
	v_cmp_eq_u32_e64 s2, v6, v5
	s_or_b32 s2, s2, vcc_lo
	s_and_b32 vcc_lo, exec_lo, s2
	s_cbranch_vccnz .LBB22_6
; %bb.32:                               ;   in Loop: Header=BB22_7 Depth=1
	v_cmp_nlt_f64_e32 vcc_lo, s[6:7], v[3:4]
	s_mov_b32 s2, -1
	s_cbranch_vccz .LBB22_41
; %bb.33:                               ;   in Loop: Header=BB22_7 Depth=1
	v_cmp_ngt_f64_e32 vcc_lo, s[26:27], v[3:4]
	s_cbranch_vccnz .LBB22_40
; %bb.34:                               ;   in Loop: Header=BB22_7 Depth=1
	v_div_scale_f64 v[5:6], null, s[26:27], s[26:27], v[3:4]
	v_rcp_f64_e32 v[27:28], v[5:6]
	v_fma_f64 v[29:30], -v[5:6], v[27:28], 1.0
	v_fma_f64 v[27:28], v[27:28], v[29:30], v[27:28]
	v_fma_f64 v[29:30], -v[5:6], v[27:28], 1.0
	v_fma_f64 v[27:28], v[27:28], v[29:30], v[27:28]
	v_div_scale_f64 v[29:30], vcc_lo, v[3:4], s[26:27], v[3:4]
	v_mul_f64 v[31:32], v[29:30], v[27:28]
	v_fma_f64 v[5:6], -v[5:6], v[31:32], v[29:30]
	v_div_fmas_f64 v[5:6], v[5:6], v[27:28], v[31:32]
	ds_read2_b32 v[27:28], v9 offset0:7 offset1:10
	v_div_fixup_f64 v[5:6], v[5:6], s[26:27], v[3:4]
	s_and_saveexec_b32 s2, s0
	s_cbranch_execz .LBB22_36
; %bb.35:                               ;   in Loop: Header=BB22_7 Depth=1
	s_waitcnt lgkmcnt(0)
	v_ashrrev_i32_e32 v30, 31, v28
	v_mov_b32_e32 v29, v28
	v_lshlrev_b64 v[29:30], 3, v[29:30]
	v_add_co_u32 v29, vcc_lo, s18, v29
	v_add_co_ci_u32_e64 v30, null, s19, v30, vcc_lo
	global_load_dwordx2 v[31:32], v[29:30], off
	s_waitcnt vmcnt(0)
	v_mul_f64 v[31:32], v[5:6], v[31:32]
	global_store_dwordx2 v[29:30], v[31:32], off
.LBB22_36:                              ;   in Loop: Header=BB22_7 Depth=1
	s_or_b32 exec_lo, exec_lo, s2
	s_waitcnt lgkmcnt(0)
	v_add_nc_u32_e32 v29, v27, v7
	s_mov_b32 s3, exec_lo
	v_cmpx_lt_i32_e64 v29, v28
	s_cbranch_execz .LBB22_39
; %bb.37:                               ;   in Loop: Header=BB22_7 Depth=1
	v_ashrrev_i32_e32 v30, 31, v29
	s_mov_b32 s39, 0
	v_lshlrev_b64 v[30:31], 3, v[29:30]
	.p2align	6
.LBB22_38:                              ;   Parent Loop BB22_7 Depth=1
                                        ; =>  This Inner Loop Header: Depth=2
	v_add_co_u32 v32, vcc_lo, s18, v30
	v_add_co_ci_u32_e64 v33, null, s19, v31, vcc_lo
	v_add_co_u32 v36, vcc_lo, s10, v30
	v_add_co_ci_u32_e64 v37, null, s72, v31, vcc_lo
	global_load_dwordx2 v[34:35], v[32:33], off
	v_add_nc_u32_e32 v29, s34, v29
	v_add_co_u32 v30, s2, v30, s46
	v_add_co_ci_u32_e64 v31, null, s47, v31, s2
	v_cmp_ge_i32_e32 vcc_lo, v29, v28
	s_or_b32 s39, vcc_lo, s39
	s_waitcnt vmcnt(0)
	v_mul_f64 v[34:35], v[5:6], v[34:35]
	global_store_dwordx2 v[32:33], v[34:35], off
	global_load_dwordx2 v[32:33], v[36:37], off
	s_waitcnt vmcnt(0)
	v_mul_f64 v[32:33], v[5:6], v[32:33]
	global_store_dwordx2 v[36:37], v[32:33], off
	s_andn2_b32 exec_lo, exec_lo, s39
	s_cbranch_execnz .LBB22_38
.LBB22_39:                              ;   in Loop: Header=BB22_7 Depth=1
	s_or_b32 exec_lo, exec_lo, s3
.LBB22_40:                              ;   in Loop: Header=BB22_7 Depth=1
	s_mov_b32 s2, 0
.LBB22_41:                              ;   in Loop: Header=BB22_7 Depth=1
	s_andn2_b32 vcc_lo, exec_lo, s2
	s_cbranch_vccnz .LBB22_48
; %bb.42:                               ;   in Loop: Header=BB22_7 Depth=1
	v_div_scale_f64 v[5:6], null, s[6:7], s[6:7], v[3:4]
	v_rcp_f64_e32 v[27:28], v[5:6]
	v_fma_f64 v[29:30], -v[5:6], v[27:28], 1.0
	v_fma_f64 v[27:28], v[27:28], v[29:30], v[27:28]
	v_fma_f64 v[29:30], -v[5:6], v[27:28], 1.0
	v_fma_f64 v[27:28], v[27:28], v[29:30], v[27:28]
	v_div_scale_f64 v[29:30], vcc_lo, v[3:4], s[6:7], v[3:4]
	v_mul_f64 v[31:32], v[29:30], v[27:28]
	v_fma_f64 v[5:6], -v[5:6], v[31:32], v[29:30]
	v_div_fmas_f64 v[5:6], v[5:6], v[27:28], v[31:32]
	v_div_fixup_f64 v[3:4], v[5:6], s[6:7], v[3:4]
	ds_read2_b32 v[5:6], v9 offset0:7 offset1:10
	s_and_saveexec_b32 s2, s0
	s_cbranch_execz .LBB22_44
; %bb.43:                               ;   in Loop: Header=BB22_7 Depth=1
	s_waitcnt lgkmcnt(0)
	v_ashrrev_i32_e32 v28, 31, v6
	v_mov_b32_e32 v27, v6
	v_lshlrev_b64 v[27:28], 3, v[27:28]
	v_add_co_u32 v27, vcc_lo, s18, v27
	v_add_co_ci_u32_e64 v28, null, s19, v28, vcc_lo
	global_load_dwordx2 v[29:30], v[27:28], off
	s_waitcnt vmcnt(0)
	v_mul_f64 v[29:30], v[3:4], v[29:30]
	global_store_dwordx2 v[27:28], v[29:30], off
.LBB22_44:                              ;   in Loop: Header=BB22_7 Depth=1
	s_or_b32 exec_lo, exec_lo, s2
	s_waitcnt lgkmcnt(0)
	v_add_nc_u32_e32 v27, v5, v7
	s_mov_b32 s3, exec_lo
	v_cmpx_lt_i32_e64 v27, v6
	s_cbranch_execz .LBB22_47
; %bb.45:                               ;   in Loop: Header=BB22_7 Depth=1
	v_ashrrev_i32_e32 v28, 31, v27
	s_mov_b32 s39, 0
	v_lshlrev_b64 v[28:29], 3, v[27:28]
	.p2align	6
.LBB22_46:                              ;   Parent Loop BB22_7 Depth=1
                                        ; =>  This Inner Loop Header: Depth=2
	v_add_co_u32 v30, vcc_lo, s18, v28
	v_add_co_ci_u32_e64 v31, null, s19, v29, vcc_lo
	v_add_co_u32 v34, vcc_lo, s10, v28
	v_add_co_ci_u32_e64 v35, null, s72, v29, vcc_lo
	global_load_dwordx2 v[32:33], v[30:31], off
	v_add_nc_u32_e32 v27, s34, v27
	v_add_co_u32 v28, s2, v28, s46
	v_add_co_ci_u32_e64 v29, null, s47, v29, s2
	v_cmp_ge_i32_e32 vcc_lo, v27, v6
	s_or_b32 s39, vcc_lo, s39
	s_waitcnt vmcnt(0)
	v_mul_f64 v[32:33], v[3:4], v[32:33]
	global_store_dwordx2 v[30:31], v[32:33], off
	global_load_dwordx2 v[30:31], v[34:35], off
	s_waitcnt vmcnt(0)
	v_mul_f64 v[30:31], v[3:4], v[30:31]
	global_store_dwordx2 v[34:35], v[30:31], off
	s_andn2_b32 exec_lo, exec_lo, s39
	s_cbranch_execnz .LBB22_46
.LBB22_47:                              ;   in Loop: Header=BB22_7 Depth=1
	s_or_b32 exec_lo, exec_lo, s3
.LBB22_48:                              ;   in Loop: Header=BB22_7 Depth=1
	s_waitcnt_vscnt null, 0x0
	s_barrier
	buffer_gl0_inv
	ds_read_b64 v[29:30], v9 offset:32
	ds_read_b32 v27, v9 offset:16
	s_mov_b32 s39, -1
                                        ; implicit-def: $vgpr33_vgpr34
                                        ; implicit-def: $vgpr31_vgpr32
                                        ; implicit-def: $vgpr28
	s_waitcnt lgkmcnt(1)
	v_cmp_gt_i32_e64 s2, s33, v30
	s_waitcnt lgkmcnt(0)
	v_cmp_lt_i32_e32 vcc_lo, v29, v27
	v_cndmask_b32_e64 v3, 0, 1, s2
	v_cmp_ne_u32_e64 s3, 1, v3
	s_cbranch_vccnz .LBB22_51
; %bb.49:                               ;   in Loop: Header=BB22_7 Depth=1
	v_mov_b32_e32 v34, v18
	v_mov_b32_e32 v32, v16
	;; [unrolled: 1-line block ×8, first 2 shown]
	s_and_b32 vcc_lo, exec_lo, s3
	s_cbranch_vccz .LBB22_151
.LBB22_50:                              ;   in Loop: Header=BB22_7 Depth=1
	s_mov_b32 s39, 0
.LBB22_51:                              ;   in Loop: Header=BB22_7 Depth=1
	s_andn2_b32 vcc_lo, exec_lo, s39
	s_cbranch_vccz .LBB22_68
; %bb.52:                               ;   in Loop: Header=BB22_7 Depth=1
	v_mov_b32_e32 v15, v31
	v_mov_b32_e32 v17, v33
	;; [unrolled: 1-line block ×5, first 2 shown]
.LBB22_53:                              ;   in Loop: Header=BB22_7 Depth=1
	s_barrier
	buffer_gl0_inv
	ds_read_b64 v[3:4], v9 offset:8
	s_waitcnt lgkmcnt(0)
	v_cmp_nlt_f64_e32 vcc_lo, s[6:7], v[3:4]
	s_cbranch_vccnz .LBB22_60
; %bb.54:                               ;   in Loop: Header=BB22_7 Depth=1
	v_div_scale_f64 v[5:6], null, v[3:4], v[3:4], s[6:7]
	v_rcp_f64_e32 v[27:28], v[5:6]
	v_fma_f64 v[29:30], -v[5:6], v[27:28], 1.0
	v_fma_f64 v[27:28], v[27:28], v[29:30], v[27:28]
	v_fma_f64 v[29:30], -v[5:6], v[27:28], 1.0
	v_fma_f64 v[27:28], v[27:28], v[29:30], v[27:28]
	v_div_scale_f64 v[29:30], vcc_lo, s[6:7], v[3:4], s[6:7]
	v_mul_f64 v[31:32], v[29:30], v[27:28]
	v_fma_f64 v[5:6], -v[5:6], v[31:32], v[29:30]
	v_div_fmas_f64 v[5:6], v[5:6], v[27:28], v[31:32]
	ds_read2_b32 v[27:28], v9 offset0:7 offset1:10
	v_div_fixup_f64 v[5:6], v[5:6], v[3:4], s[6:7]
	s_and_saveexec_b32 s2, s0
	s_cbranch_execz .LBB22_56
; %bb.55:                               ;   in Loop: Header=BB22_7 Depth=1
	s_waitcnt lgkmcnt(0)
	v_ashrrev_i32_e32 v30, 31, v28
	v_mov_b32_e32 v29, v28
	v_lshlrev_b64 v[29:30], 3, v[29:30]
	v_add_co_u32 v29, vcc_lo, s18, v29
	v_add_co_ci_u32_e64 v30, null, s19, v30, vcc_lo
	global_load_dwordx2 v[31:32], v[29:30], off
	s_waitcnt vmcnt(0)
	v_mul_f64 v[31:32], v[5:6], v[31:32]
	global_store_dwordx2 v[29:30], v[31:32], off
.LBB22_56:                              ;   in Loop: Header=BB22_7 Depth=1
	s_or_b32 exec_lo, exec_lo, s2
	s_waitcnt lgkmcnt(0)
	v_add_nc_u32_e32 v29, v27, v7
	s_mov_b32 s3, exec_lo
	v_cmpx_lt_i32_e64 v29, v28
	s_cbranch_execz .LBB22_59
; %bb.57:                               ;   in Loop: Header=BB22_7 Depth=1
	v_ashrrev_i32_e32 v30, 31, v29
	s_mov_b32 s39, 0
	v_lshlrev_b64 v[30:31], 3, v[29:30]
	.p2align	6
.LBB22_58:                              ;   Parent Loop BB22_7 Depth=1
                                        ; =>  This Inner Loop Header: Depth=2
	v_add_co_u32 v32, vcc_lo, s18, v30
	v_add_co_ci_u32_e64 v33, null, s19, v31, vcc_lo
	v_add_co_u32 v36, vcc_lo, s10, v30
	v_add_co_ci_u32_e64 v37, null, s72, v31, vcc_lo
	global_load_dwordx2 v[34:35], v[32:33], off
	v_add_nc_u32_e32 v29, s34, v29
	v_add_co_u32 v30, s2, v30, s46
	v_add_co_ci_u32_e64 v31, null, s47, v31, s2
	v_cmp_ge_i32_e32 vcc_lo, v29, v28
	s_or_b32 s39, vcc_lo, s39
	s_waitcnt vmcnt(0)
	v_mul_f64 v[34:35], v[5:6], v[34:35]
	global_store_dwordx2 v[32:33], v[34:35], off
	global_load_dwordx2 v[32:33], v[36:37], off
	s_waitcnt vmcnt(0)
	v_mul_f64 v[32:33], v[5:6], v[32:33]
	global_store_dwordx2 v[36:37], v[32:33], off
	s_andn2_b32 exec_lo, exec_lo, s39
	s_cbranch_execnz .LBB22_58
.LBB22_59:                              ;   in Loop: Header=BB22_7 Depth=1
	s_or_b32 exec_lo, exec_lo, s3
.LBB22_60:                              ;   in Loop: Header=BB22_7 Depth=1
	v_cmp_ngt_f64_e32 vcc_lo, s[26:27], v[3:4]
	s_cbranch_vccnz .LBB22_5
; %bb.61:                               ;   in Loop: Header=BB22_7 Depth=1
	v_div_scale_f64 v[5:6], null, v[3:4], v[3:4], s[26:27]
	v_rcp_f64_e32 v[27:28], v[5:6]
	v_fma_f64 v[29:30], -v[5:6], v[27:28], 1.0
	v_fma_f64 v[27:28], v[27:28], v[29:30], v[27:28]
	v_fma_f64 v[29:30], -v[5:6], v[27:28], 1.0
	v_fma_f64 v[27:28], v[27:28], v[29:30], v[27:28]
	v_div_scale_f64 v[29:30], vcc_lo, s[26:27], v[3:4], s[26:27]
	v_mul_f64 v[31:32], v[29:30], v[27:28]
	v_fma_f64 v[5:6], -v[5:6], v[31:32], v[29:30]
	v_div_fmas_f64 v[5:6], v[5:6], v[27:28], v[31:32]
	v_div_fixup_f64 v[3:4], v[5:6], v[3:4], s[26:27]
	ds_read2_b32 v[5:6], v9 offset0:7 offset1:10
	s_and_saveexec_b32 s2, s0
	s_cbranch_execz .LBB22_63
; %bb.62:                               ;   in Loop: Header=BB22_7 Depth=1
	s_waitcnt lgkmcnt(0)
	v_ashrrev_i32_e32 v28, 31, v6
	v_mov_b32_e32 v27, v6
	v_lshlrev_b64 v[27:28], 3, v[27:28]
	v_add_co_u32 v27, vcc_lo, s18, v27
	v_add_co_ci_u32_e64 v28, null, s19, v28, vcc_lo
	global_load_dwordx2 v[29:30], v[27:28], off
	s_waitcnt vmcnt(0)
	v_mul_f64 v[29:30], v[3:4], v[29:30]
	global_store_dwordx2 v[27:28], v[29:30], off
.LBB22_63:                              ;   in Loop: Header=BB22_7 Depth=1
	s_or_b32 exec_lo, exec_lo, s2
	s_waitcnt lgkmcnt(0)
	v_add_nc_u32_e32 v27, v5, v7
	s_mov_b32 s3, exec_lo
	v_cmpx_lt_i32_e64 v27, v6
	s_cbranch_execz .LBB22_4
; %bb.64:                               ;   in Loop: Header=BB22_7 Depth=1
	v_ashrrev_i32_e32 v28, 31, v27
	s_mov_b32 s39, 0
	v_lshlrev_b64 v[28:29], 3, v[27:28]
	.p2align	6
.LBB22_65:                              ;   Parent Loop BB22_7 Depth=1
                                        ; =>  This Inner Loop Header: Depth=2
	v_add_co_u32 v30, vcc_lo, s18, v28
	v_add_co_ci_u32_e64 v31, null, s19, v29, vcc_lo
	v_add_co_u32 v34, vcc_lo, s10, v28
	v_add_co_ci_u32_e64 v35, null, s72, v29, vcc_lo
	global_load_dwordx2 v[32:33], v[30:31], off
	v_add_nc_u32_e32 v27, s34, v27
	v_add_co_u32 v28, s2, v28, s46
	v_add_co_ci_u32_e64 v29, null, s47, v29, s2
	v_cmp_ge_i32_e32 vcc_lo, v27, v6
	s_or_b32 s39, vcc_lo, s39
	s_waitcnt vmcnt(0)
	v_mul_f64 v[32:33], v[3:4], v[32:33]
	global_store_dwordx2 v[30:31], v[32:33], off
	global_load_dwordx2 v[30:31], v[34:35], off
	s_waitcnt vmcnt(0)
	v_mul_f64 v[30:31], v[3:4], v[30:31]
	global_store_dwordx2 v[34:35], v[30:31], off
	s_andn2_b32 exec_lo, exec_lo, s39
	s_cbranch_execnz .LBB22_65
	s_branch .LBB22_4
.LBB22_66:                              ;   in Loop: Header=BB22_68 Depth=2
	s_or_b32 exec_lo, exec_lo, s39
	s_waitcnt_vscnt null, 0x0
	s_barrier
	buffer_gl0_inv
	ds_read_b32 v27, v9 offset:16
.LBB22_67:                              ;   in Loop: Header=BB22_68 Depth=2
	ds_read_b64 v[29:30], v9 offset:32
	s_waitcnt lgkmcnt(0)
	v_cmp_ge_i32_e32 vcc_lo, v27, v29
	v_cmp_gt_i32_e64 s2, s33, v30
	s_and_b32 s2, vcc_lo, s2
.LBB22_68:                              ;   Parent Loop BB22_7 Depth=1
                                        ; =>  This Loop Header: Depth=2
                                        ;       Child Loop BB22_75 Depth 3
                                        ;       Child Loop BB22_95 Depth 3
	;; [unrolled: 1-line block ×3, first 2 shown]
                                        ;         Child Loop BB22_147 Depth 4
	s_andn2_b32 vcc_lo, exec_lo, s2
	s_cbranch_vccnz .LBB22_53
; %bb.69:                               ;   in Loop: Header=BB22_68 Depth=2
	s_and_saveexec_b32 s3, s0
	s_cbranch_execz .LBB22_142
; %bb.70:                               ;   in Loop: Header=BB22_68 Depth=2
	v_cmp_gt_i32_e32 vcc_lo, v27, v29
	s_mov_b32 s2, 0
	s_cbranch_vccnz .LBB22_72
; %bb.71:                               ;   in Loop: Header=BB22_68 Depth=2
	v_ashrrev_i32_e32 v28, 31, v27
	v_mov_b32_e32 v4, v27
	s_mov_b32 s39, -1
	v_mov_b32_e32 v5, v28
	v_mov_b32_e32 v3, v27
	s_cbranch_execz .LBB22_73
	s_branch .LBB22_78
.LBB22_72:                              ;   in Loop: Header=BB22_68 Depth=2
	s_mov_b32 s39, 0
                                        ; implicit-def: $vgpr4_vgpr5
	v_mov_b32_e32 v3, v27
.LBB22_73:                              ;   in Loop: Header=BB22_68 Depth=2
	v_ashrrev_i32_e32 v28, 31, v27
	v_mov_b32_e32 v5, v27
	v_lshlrev_b64 v[3:4], 3, v[27:28]
	v_add_co_u32 v13, vcc_lo, s10, v3
	v_add_co_ci_u32_e64 v14, null, s72, v4, vcc_lo
	v_add_co_u32 v3, vcc_lo, s83, v3
	v_add_co_ci_u32_e64 v4, null, s84, v4, vcc_lo
	s_branch .LBB22_75
	.p2align	6
.LBB22_74:                              ;   in Loop: Header=BB22_75 Depth=3
	v_add_nc_u32_e32 v5, -1, v60
	v_add_co_u32 v3, vcc_lo, v3, -8
	v_add_co_ci_u32_e64 v4, null, -1, v4, vcc_lo
	v_cmp_le_i32_e64 s39, v5, v29
	s_mov_b32 s2, 0
	v_add_co_u32 v13, vcc_lo, v13, -8
	v_add_co_ci_u32_e64 v14, null, -1, v14, vcc_lo
	s_andn2_b32 vcc_lo, exec_lo, s39
	s_cbranch_vccz .LBB22_77
.LBB22_75:                              ;   Parent Loop BB22_7 Depth=1
                                        ;     Parent Loop BB22_68 Depth=2
                                        ; =>    This Inner Loop Header: Depth=3
	global_load_dwordx4 v[31:34], v[3:4], off
	global_load_dwordx2 v[19:20], v[13:14], off offset:-8
	v_mov_b32_e32 v60, v5
	s_waitcnt vmcnt(1)
	v_mul_f64 v[31:32], v[33:34], v[31:32]
	s_waitcnt vmcnt(0)
	v_mul_f64 v[19:20], v[19:20], v[19:20]
	v_mul_f64 v[31:32], v[11:12], |v[31:32]|
	v_cmp_le_f64_e64 s2, |v[19:20]|, v[31:32]
	s_and_b32 vcc_lo, exec_lo, s2
	s_cbranch_vccz .LBB22_74
; %bb.76:                               ;   in Loop: Header=BB22_68 Depth=2
	s_mov_b32 s2, -1
                                        ; implicit-def: $vgpr5
                                        ; implicit-def: $vgpr3_vgpr4
	v_add_co_u32 v13, vcc_lo, v13, -8
	v_add_co_ci_u32_e64 v14, null, -1, v14, vcc_lo
.LBB22_77:                              ;   in Loop: Header=BB22_68 Depth=2
	v_mov_b32_e32 v19, v27
	v_mov_b32_e32 v4, v27
	;; [unrolled: 1-line block ×5, first 2 shown]
	s_xor_b32 s39, s2, -1
	s_mov_b32 s2, -1
.LBB22_78:                              ;   in Loop: Header=BB22_68 Depth=2
	s_and_b32 vcc_lo, exec_lo, s39
	s_cbranch_vccnz .LBB22_107
; %bb.79:                               ;   in Loop: Header=BB22_68 Depth=2
	s_andn2_b32 vcc_lo, exec_lo, s2
	s_cbranch_vccnz .LBB22_81
.LBB22_80:                              ;   in Loop: Header=BB22_68 Depth=2
	v_mov_b32_e32 v4, v19
	v_mov_b32_e32 v10, v9
	;; [unrolled: 1-line block ×4, first 2 shown]
	ds_write2_b32 v9, v60, v27 offset0:5 offset1:7
	global_store_dwordx2 v[13:14], v[9:10], off
.LBB22_81:                              ;   in Loop: Header=BB22_68 Depth=2
	v_lshlrev_b64 v[31:32], 3, v[4:5]
	v_add_nc_u32_e32 v4, -1, v27
	s_mov_b32 s2, exec_lo
	v_add_co_u32 v28, vcc_lo, s18, v31
	v_add_co_ci_u32_e64 v29, null, s19, v32, vcc_lo
	global_load_dwordx2 v[39:40], v[28:29], off
	s_waitcnt vmcnt(0)
	ds_write_b64 v9, v[39:40]
	v_cmpx_ne_u32_e64 v3, v27
	s_xor_b32 s39, exec_lo, s2
	s_cbranch_execz .LBB22_139
; %bb.82:                               ;   in Loop: Header=BB22_68 Depth=2
	s_mov_b32 s2, exec_lo
	v_cmpx_ne_u32_e64 v3, v4
	s_xor_b32 s58, exec_lo, s2
	s_cbranch_execz .LBB22_111
; %bb.83:                               ;   in Loop: Header=BB22_68 Depth=2
	v_add_co_u32 v5, vcc_lo, s10, v31
	v_add_co_ci_u32_e64 v6, null, s72, v32, vcc_lo
	s_mov_b32 s62, exec_lo
	global_load_dwordx2 v[31:32], v[28:29], off offset:-8
	global_load_dwordx2 v[33:34], v[5:6], off offset:-8
	s_waitcnt vmcnt(1)
	v_add_f64 v[31:32], v[31:32], -v[39:40]
	s_waitcnt vmcnt(0)
	v_add_f64 v[35:36], v[33:34], v[33:34]
	v_div_scale_f64 v[37:38], null, v[35:36], v[35:36], v[31:32]
	v_div_scale_f64 v[45:46], vcc_lo, v[31:32], v[35:36], v[31:32]
	v_rcp_f64_e32 v[41:42], v[37:38]
	v_fma_f64 v[43:44], -v[37:38], v[41:42], 1.0
	v_fma_f64 v[41:42], v[41:42], v[43:44], v[41:42]
	v_fma_f64 v[43:44], -v[37:38], v[41:42], 1.0
	v_fma_f64 v[41:42], v[41:42], v[43:44], v[41:42]
	v_mul_f64 v[43:44], v[45:46], v[41:42]
	v_fma_f64 v[37:38], -v[37:38], v[43:44], v[45:46]
	v_div_fmas_f64 v[37:38], v[37:38], v[41:42], v[43:44]
	v_div_fixup_f64 v[31:32], v[37:38], v[35:36], v[31:32]
	v_fma_f64 v[35:36], v[31:32], v[31:32], 1.0
	v_cmp_gt_f64_e32 vcc_lo, 0x10000000, v[35:36]
	v_cndmask_b32_e64 v4, 0, 0x100, vcc_lo
	v_ldexp_f64 v[35:36], v[35:36], v4
	v_ashrrev_i32_e32 v4, 31, v3
	v_rsq_f64_e32 v[37:38], v[35:36]
	v_mul_f64 v[41:42], v[35:36], v[37:38]
	v_mul_f64 v[37:38], v[37:38], 0.5
	v_fma_f64 v[43:44], -v[37:38], v[41:42], 0.5
	v_fma_f64 v[45:46], v[41:42], v[43:44], v[41:42]
	v_fma_f64 v[47:48], v[37:38], v[43:44], v[37:38]
	v_lshlrev_b64 v[41:42], 3, v[3:4]
	v_cndmask_b32_e64 v4, 0, 0xffffff80, vcc_lo
	v_cmp_class_f64_e64 vcc_lo, v[35:36], 0x260
	v_fma_f64 v[37:38], -v[45:46], v[45:46], v[35:36]
	v_fma_f64 v[45:46], v[37:38], v[47:48], v[45:46]
	v_add_co_u32 v37, s2, s18, v41
	v_add_co_ci_u32_e64 v38, null, s19, v42, s2
	global_load_dwordx2 v[43:44], v[37:38], off
	v_fma_f64 v[49:50], -v[45:46], v[45:46], v[35:36]
	v_fma_f64 v[45:46], v[49:50], v[47:48], v[45:46]
	v_ldexp_f64 v[45:46], v[45:46], v4
	v_cndmask_b32_e32 v4, v46, v36, vcc_lo
	v_cndmask_b32_e32 v35, v45, v35, vcc_lo
	v_cmp_nle_f64_e32 vcc_lo, 0, v[31:32]
	v_and_b32_e32 v10, 0x7fffffff, v4
	v_or_b32_e32 v4, 0x80000000, v4
	v_cndmask_b32_e32 v36, v10, v4, vcc_lo
	v_add_nc_u32_e32 v4, 1, v30
	v_mov_b32_e32 v10, v9
	ds_write_b32 v9, v4 offset:36
	ds_write_b64 v9, v[9:10]
	v_add_f64 v[31:32], v[31:32], v[35:36]
	v_div_scale_f64 v[35:36], null, v[31:32], v[31:32], v[33:34]
	v_rcp_f64_e32 v[45:46], v[35:36]
	v_fma_f64 v[47:48], -v[35:36], v[45:46], 1.0
	v_fma_f64 v[45:46], v[45:46], v[47:48], v[45:46]
	v_fma_f64 v[47:48], -v[35:36], v[45:46], 1.0
	v_fma_f64 v[45:46], v[45:46], v[47:48], v[45:46]
	v_div_scale_f64 v[47:48], vcc_lo, v[33:34], v[31:32], v[33:34]
	v_mul_f64 v[49:50], v[47:48], v[45:46]
	v_fma_f64 v[35:36], -v[35:36], v[49:50], v[47:48]
	v_div_fmas_f64 v[35:36], v[35:36], v[45:46], v[49:50]
	s_waitcnt vmcnt(0)
	v_add_f64 v[45:46], v[43:44], -v[39:40]
	v_div_fixup_f64 v[31:32], v[35:36], v[31:32], v[33:34]
	v_mov_b32_e32 v35, 0
	v_mov_b32_e32 v36, 0
	v_add_f64 v[31:32], v[45:46], v[31:32]
	v_cmpx_lt_i32_e64 v3, v27
	s_cbranch_execz .LBB22_110
; %bb.84:                               ;   in Loop: Header=BB22_68 Depth=2
	v_add_co_u32 v33, vcc_lo, s10, v41
	v_add_co_ci_u32_e64 v34, null, s72, v42, vcc_lo
	v_mov_b32_e32 v45, 0
	v_mov_b32_e32 v46, 0
	s_mov_b32 s2, exec_lo
	global_load_dwordx2 v[39:40], v[33:34], off
	v_mov_b32_e32 v33, 0
	v_mov_b32_e32 v34, 0x3ff00000
	s_waitcnt vmcnt(0)
	v_cmpx_neq_f64_e32 0, v[39:40]
	s_cbranch_execz .LBB22_92
; %bb.85:                               ;   in Loop: Header=BB22_68 Depth=2
	v_mov_b32_e32 v33, 0
	v_mov_b32_e32 v45, 0
	v_mov_b32_e32 v34, 0
	v_mov_b32_e32 v46, 0x3ff00000
	s_mov_b32 s63, exec_lo
	v_cmpx_neq_f64_e32 0, v[31:32]
	s_cbranch_execz .LBB22_91
; %bb.86:                               ;   in Loop: Header=BB22_68 Depth=2
	v_cmp_ngt_f64_e64 s64, |v[39:40]|, |v[31:32]|
                                        ; implicit-def: $vgpr45_vgpr46
                                        ; implicit-def: $vgpr33_vgpr34
	s_and_saveexec_b32 s65, s64
	s_xor_b32 s64, exec_lo, s65
	s_cbranch_execz .LBB22_88
; %bb.87:                               ;   in Loop: Header=BB22_68 Depth=2
	v_div_scale_f64 v[33:34], null, v[31:32], v[31:32], -v[39:40]
	v_div_scale_f64 v[47:48], vcc_lo, -v[39:40], v[31:32], -v[39:40]
	v_rcp_f64_e32 v[35:36], v[33:34]
	v_fma_f64 v[45:46], -v[33:34], v[35:36], 1.0
	v_fma_f64 v[35:36], v[35:36], v[45:46], v[35:36]
	v_fma_f64 v[45:46], -v[33:34], v[35:36], 1.0
	v_fma_f64 v[35:36], v[35:36], v[45:46], v[35:36]
	v_mul_f64 v[45:46], v[47:48], v[35:36]
	v_fma_f64 v[33:34], -v[33:34], v[45:46], v[47:48]
	v_div_fmas_f64 v[33:34], v[33:34], v[35:36], v[45:46]
	v_div_fixup_f64 v[30:31], v[33:34], v[31:32], -v[39:40]
	v_fma_f64 v[32:33], v[30:31], v[30:31], 1.0
	v_cmp_gt_f64_e32 vcc_lo, 0x10000000, v[32:33]
	v_cndmask_b32_e64 v4, 0, 0x100, vcc_lo
	v_ldexp_f64 v[32:33], v[32:33], v4
	v_cndmask_b32_e64 v4, 0, 0xffffff80, vcc_lo
	v_rsq_f64_e32 v[34:35], v[32:33]
	v_cmp_class_f64_e64 vcc_lo, v[32:33], 0x260
	v_mul_f64 v[45:46], v[32:33], v[34:35]
	v_mul_f64 v[34:35], v[34:35], 0.5
	v_fma_f64 v[47:48], -v[34:35], v[45:46], 0.5
	v_fma_f64 v[45:46], v[45:46], v[47:48], v[45:46]
	v_fma_f64 v[34:35], v[34:35], v[47:48], v[34:35]
	v_fma_f64 v[47:48], -v[45:46], v[45:46], v[32:33]
	v_fma_f64 v[45:46], v[47:48], v[34:35], v[45:46]
	v_fma_f64 v[47:48], -v[45:46], v[45:46], v[32:33]
	v_fma_f64 v[34:35], v[47:48], v[34:35], v[45:46]
	v_ldexp_f64 v[34:35], v[34:35], v4
	v_cndmask_b32_e32 v33, v35, v33, vcc_lo
	v_cndmask_b32_e32 v32, v34, v32, vcc_lo
	v_div_scale_f64 v[34:35], null, v[32:33], v[32:33], 1.0
	v_rcp_f64_e32 v[45:46], v[34:35]
	v_fma_f64 v[47:48], -v[34:35], v[45:46], 1.0
	v_fma_f64 v[45:46], v[45:46], v[47:48], v[45:46]
	v_fma_f64 v[47:48], -v[34:35], v[45:46], 1.0
	v_fma_f64 v[45:46], v[45:46], v[47:48], v[45:46]
	v_div_scale_f64 v[47:48], vcc_lo, 1.0, v[32:33], 1.0
	v_mul_f64 v[49:50], v[47:48], v[45:46]
	v_fma_f64 v[34:35], -v[34:35], v[49:50], v[47:48]
	v_div_fmas_f64 v[34:35], v[34:35], v[45:46], v[49:50]
	v_div_fixup_f64 v[33:34], v[34:35], v[32:33], 1.0
	v_mul_f64 v[45:46], v[30:31], v[33:34]
                                        ; implicit-def: $vgpr31_vgpr32
.LBB22_88:                              ;   in Loop: Header=BB22_68 Depth=2
	s_andn2_saveexec_b32 s64, s64
	s_cbranch_execz .LBB22_90
; %bb.89:                               ;   in Loop: Header=BB22_68 Depth=2
	v_div_scale_f64 v[33:34], null, v[39:40], v[39:40], -v[31:32]
	v_div_scale_f64 v[47:48], vcc_lo, -v[31:32], v[39:40], -v[31:32]
	v_rcp_f64_e32 v[35:36], v[33:34]
	v_fma_f64 v[45:46], -v[33:34], v[35:36], 1.0
	v_fma_f64 v[35:36], v[35:36], v[45:46], v[35:36]
	v_fma_f64 v[45:46], -v[33:34], v[35:36], 1.0
	v_fma_f64 v[35:36], v[35:36], v[45:46], v[35:36]
	v_mul_f64 v[45:46], v[47:48], v[35:36]
	v_fma_f64 v[33:34], -v[33:34], v[45:46], v[47:48]
	v_div_fmas_f64 v[33:34], v[33:34], v[35:36], v[45:46]
	v_div_fixup_f64 v[30:31], v[33:34], v[39:40], -v[31:32]
	v_fma_f64 v[32:33], v[30:31], v[30:31], 1.0
	v_cmp_gt_f64_e32 vcc_lo, 0x10000000, v[32:33]
	v_cndmask_b32_e64 v4, 0, 0x100, vcc_lo
	v_ldexp_f64 v[32:33], v[32:33], v4
	v_cndmask_b32_e64 v4, 0, 0xffffff80, vcc_lo
	v_rsq_f64_e32 v[34:35], v[32:33]
	v_cmp_class_f64_e64 vcc_lo, v[32:33], 0x260
	v_mul_f64 v[45:46], v[32:33], v[34:35]
	v_mul_f64 v[34:35], v[34:35], 0.5
	v_fma_f64 v[47:48], -v[34:35], v[45:46], 0.5
	v_fma_f64 v[45:46], v[45:46], v[47:48], v[45:46]
	v_fma_f64 v[34:35], v[34:35], v[47:48], v[34:35]
	v_fma_f64 v[47:48], -v[45:46], v[45:46], v[32:33]
	v_fma_f64 v[45:46], v[47:48], v[34:35], v[45:46]
	v_fma_f64 v[47:48], -v[45:46], v[45:46], v[32:33]
	v_fma_f64 v[34:35], v[47:48], v[34:35], v[45:46]
	v_ldexp_f64 v[34:35], v[34:35], v4
	v_cndmask_b32_e32 v33, v35, v33, vcc_lo
	v_cndmask_b32_e32 v32, v34, v32, vcc_lo
	v_div_scale_f64 v[34:35], null, v[32:33], v[32:33], 1.0
	v_rcp_f64_e32 v[45:46], v[34:35]
	v_fma_f64 v[47:48], -v[34:35], v[45:46], 1.0
	v_fma_f64 v[45:46], v[45:46], v[47:48], v[45:46]
	v_fma_f64 v[47:48], -v[34:35], v[45:46], 1.0
	v_fma_f64 v[45:46], v[45:46], v[47:48], v[45:46]
	v_div_scale_f64 v[47:48], vcc_lo, 1.0, v[32:33], 1.0
	v_mul_f64 v[49:50], v[47:48], v[45:46]
	v_fma_f64 v[34:35], -v[34:35], v[49:50], v[47:48]
	v_div_fmas_f64 v[34:35], v[34:35], v[45:46], v[49:50]
	v_div_fixup_f64 v[45:46], v[34:35], v[32:33], 1.0
	v_mul_f64 v[33:34], v[30:31], v[45:46]
.LBB22_90:                              ;   in Loop: Header=BB22_68 Depth=2
	s_or_b32 exec_lo, exec_lo, s64
.LBB22_91:                              ;   in Loop: Header=BB22_68 Depth=2
	s_or_b32 exec_lo, exec_lo, s63
.LBB22_92:                              ;   in Loop: Header=BB22_68 Depth=2
	s_or_b32 exec_lo, exec_lo, s2
	global_load_dwordx2 v[30:31], v[37:38], off offset:8
	v_add_f64 v[35:36], v[33:34], v[33:34]
	s_mov_b32 s63, exec_lo
	s_waitcnt vmcnt(0)
	v_add_f64 v[30:31], v[30:31], -v[43:44]
	v_mul_f64 v[30:31], v[45:46], v[30:31]
	v_fma_f64 v[30:31], v[39:40], v[35:36], -v[30:31]
	v_mul_f64 v[35:36], v[30:31], -v[45:46]
	v_fma_f64 v[43:44], v[30:31], -v[45:46], v[43:44]
	v_fma_f64 v[31:32], v[33:34], v[30:31], -v[39:40]
	v_add_co_u32 v40, vcc_lo, s75, v41
	v_add_co_ci_u32_e64 v41, null, s76, v42, vcc_lo
	v_xor_b32_e32 v46, 0x80000000, v46
	v_add_nc_u32_e32 v39, 1, v3
	v_add_co_u32 v47, vcc_lo, v40, s44
	v_add_co_ci_u32_e64 v48, null, s45, v41, vcc_lo
	ds_write_b64 v9, v[35:36]
	global_store_dwordx2 v[37:38], v[43:44], off
	global_store_dwordx2 v[40:41], v[33:34], off
	global_store_dwordx2 v[47:48], v[45:46], off offset:-8
	v_cmpx_lt_i32_e64 v39, v27
	s_cbranch_execz .LBB22_109
; %bb.93:                               ;   in Loop: Header=BB22_68 Depth=2
	v_ashrrev_i32_e32 v40, 31, v39
	s_mov_b32 s65, 1
	s_mov_b32 s64, 0
	v_lshlrev_b64 v[41:42], 3, v[39:40]
	v_add_co_u32 v37, vcc_lo, s75, v41
	v_add_co_ci_u32_e64 v38, null, s76, v42, vcc_lo
	v_add_co_u32 v39, vcc_lo, s52, v41
	v_add_co_ci_u32_e64 v40, null, s53, v42, vcc_lo
	;; [unrolled: 2-line block ×3, first 2 shown]
	s_branch .LBB22_95
.LBB22_94:                              ;   in Loop: Header=BB22_95 Depth=3
	global_load_dwordx4 v[51:54], v[41:42], off
	v_mul_f64 v[32:33], v[33:34], v[43:44]
	v_add_f64 v[43:44], v[47:48], v[47:48]
	v_add_co_u32 v39, vcc_lo, v39, 8
	v_add_co_ci_u32_e64 v40, null, 0, v40, vcc_lo
	s_add_i32 s65, s65, 1
	v_xor_b32_e32 v46, 0x80000000, v50
	v_add_nc_u32_e32 v4, s65, v3
	v_mov_b32_e32 v45, v49
	s_waitcnt vmcnt(0)
	v_add_f64 v[30:31], v[51:52], -v[35:36]
	v_add_f64 v[35:36], v[53:54], -v[30:31]
	v_mul_f64 v[34:35], v[49:50], v[35:36]
	v_fma_f64 v[43:44], v[32:33], v[43:44], -v[34:35]
	v_fma_f64 v[51:52], v[43:44], -v[49:50], v[30:31]
	v_mul_f64 v[35:36], v[43:44], -v[49:50]
	v_fma_f64 v[31:32], v[47:48], v[43:44], -v[32:33]
	v_add_co_u32 v33, vcc_lo, v41, 8
	v_add_co_ci_u32_e64 v34, null, 0, v42, vcc_lo
	v_add_co_u32 v43, vcc_lo, v37, s29
	v_add_co_ci_u32_e64 v44, null, s81, v38, vcc_lo
	v_cmp_ge_i32_e32 vcc_lo, v4, v27
	global_store_dwordx2 v[41:42], v[51:52], off
	global_store_dwordx2 v[37:38], v[47:48], off
	v_add_co_u32 v37, s2, v37, 8
	v_mov_b32_e32 v42, v34
	v_mov_b32_e32 v41, v33
	;; [unrolled: 1-line block ×3, first 2 shown]
	v_add_co_ci_u32_e64 v38, null, 0, v38, s2
	v_mov_b32_e32 v34, v48
	s_or_b32 s64, vcc_lo, s64
	global_store_dwordx2 v[43:44], v[45:46], off
	s_andn2_b32 exec_lo, exec_lo, s64
	s_cbranch_execz .LBB22_108
.LBB22_95:                              ;   Parent Loop BB22_7 Depth=1
                                        ;     Parent Loop BB22_68 Depth=2
                                        ; =>    This Inner Loop Header: Depth=3
	global_load_dwordx2 v[43:44], v[39:40], off offset:8
	v_mov_b32_e32 v49, 0
	v_mov_b32_e32 v47, 0
	;; [unrolled: 1-line block ×4, first 2 shown]
	s_mov_b32 s2, exec_lo
	s_waitcnt vmcnt(0)
	v_mul_f64 v[45:46], v[45:46], v[43:44]
	v_cmpx_neq_f64_e32 0, v[45:46]
	s_cbranch_execz .LBB22_105
; %bb.96:                               ;   in Loop: Header=BB22_95 Depth=3
	v_xor_b32_e32 v52, 0x80000000, v46
	v_mov_b32_e32 v51, v45
	s_mov_b32 s66, exec_lo
                                        ; implicit-def: $vgpr49_vgpr50
                                        ; implicit-def: $vgpr47_vgpr48
	v_cmpx_neq_f64_e32 0, v[31:32]
	s_xor_b32 s66, exec_lo, s66
	s_cbranch_execz .LBB22_102
; %bb.97:                               ;   in Loop: Header=BB22_95 Depth=3
	v_cmp_ngt_f64_e64 s67, |v[45:46]|, |v[31:32]|
                                        ; implicit-def: $vgpr49_vgpr50
                                        ; implicit-def: $vgpr47_vgpr48
	s_and_saveexec_b32 s68, s67
	s_xor_b32 s67, exec_lo, s68
	s_cbranch_execz .LBB22_99
; %bb.98:                               ;   in Loop: Header=BB22_95 Depth=3
	v_div_scale_f64 v[47:48], null, v[31:32], v[31:32], -v[45:46]
	v_div_scale_f64 v[53:54], vcc_lo, -v[45:46], v[31:32], -v[45:46]
	v_rcp_f64_e32 v[49:50], v[47:48]
	v_fma_f64 v[51:52], -v[47:48], v[49:50], 1.0
	v_fma_f64 v[49:50], v[49:50], v[51:52], v[49:50]
	v_fma_f64 v[51:52], -v[47:48], v[49:50], 1.0
	v_fma_f64 v[49:50], v[49:50], v[51:52], v[49:50]
	v_mul_f64 v[51:52], v[53:54], v[49:50]
	v_fma_f64 v[47:48], -v[47:48], v[51:52], v[53:54]
	v_div_fmas_f64 v[47:48], v[47:48], v[49:50], v[51:52]
	v_div_fixup_f64 v[49:50], v[47:48], v[31:32], -v[45:46]
	v_fma_f64 v[47:48], v[49:50], v[49:50], 1.0
	v_cmp_gt_f64_e32 vcc_lo, 0x10000000, v[47:48]
	v_cndmask_b32_e64 v4, 0, 0x100, vcc_lo
	v_ldexp_f64 v[47:48], v[47:48], v4
	v_cndmask_b32_e64 v4, 0, 0xffffff80, vcc_lo
	v_rsq_f64_e32 v[51:52], v[47:48]
	v_cmp_class_f64_e64 vcc_lo, v[47:48], 0x260
	v_mul_f64 v[53:54], v[47:48], v[51:52]
	v_mul_f64 v[51:52], v[51:52], 0.5
	v_fma_f64 v[55:56], -v[51:52], v[53:54], 0.5
	v_fma_f64 v[53:54], v[53:54], v[55:56], v[53:54]
	v_fma_f64 v[51:52], v[51:52], v[55:56], v[51:52]
	v_fma_f64 v[55:56], -v[53:54], v[53:54], v[47:48]
	v_fma_f64 v[53:54], v[55:56], v[51:52], v[53:54]
	v_fma_f64 v[55:56], -v[53:54], v[53:54], v[47:48]
	v_fma_f64 v[51:52], v[55:56], v[51:52], v[53:54]
	v_ldexp_f64 v[51:52], v[51:52], v4
	v_cndmask_b32_e32 v48, v52, v48, vcc_lo
	v_cndmask_b32_e32 v47, v51, v47, vcc_lo
	v_div_scale_f64 v[51:52], null, v[47:48], v[47:48], 1.0
	v_rcp_f64_e32 v[53:54], v[51:52]
	v_fma_f64 v[55:56], -v[51:52], v[53:54], 1.0
	v_fma_f64 v[53:54], v[53:54], v[55:56], v[53:54]
	v_fma_f64 v[55:56], -v[51:52], v[53:54], 1.0
	v_fma_f64 v[53:54], v[53:54], v[55:56], v[53:54]
	v_div_scale_f64 v[55:56], vcc_lo, 1.0, v[47:48], 1.0
	v_mul_f64 v[62:63], v[55:56], v[53:54]
	v_fma_f64 v[51:52], -v[51:52], v[62:63], v[55:56]
	v_div_fmas_f64 v[51:52], v[51:52], v[53:54], v[62:63]
	v_div_fixup_f64 v[47:48], v[51:52], v[47:48], 1.0
	v_mul_f64 v[49:50], v[49:50], v[47:48]
.LBB22_99:                              ;   in Loop: Header=BB22_95 Depth=3
	s_andn2_saveexec_b32 s67, s67
	s_cbranch_execz .LBB22_101
; %bb.100:                              ;   in Loop: Header=BB22_95 Depth=3
	v_div_scale_f64 v[47:48], null, v[45:46], v[45:46], -v[31:32]
	v_div_scale_f64 v[53:54], vcc_lo, -v[31:32], v[45:46], -v[31:32]
	v_rcp_f64_e32 v[49:50], v[47:48]
	v_fma_f64 v[51:52], -v[47:48], v[49:50], 1.0
	v_fma_f64 v[49:50], v[49:50], v[51:52], v[49:50]
	v_fma_f64 v[51:52], -v[47:48], v[49:50], 1.0
	v_fma_f64 v[49:50], v[49:50], v[51:52], v[49:50]
	v_mul_f64 v[51:52], v[53:54], v[49:50]
	v_fma_f64 v[47:48], -v[47:48], v[51:52], v[53:54]
	v_div_fmas_f64 v[47:48], v[47:48], v[49:50], v[51:52]
	v_div_fixup_f64 v[47:48], v[47:48], v[45:46], -v[31:32]
	v_fma_f64 v[49:50], v[47:48], v[47:48], 1.0
	v_cmp_gt_f64_e32 vcc_lo, 0x10000000, v[49:50]
	v_cndmask_b32_e64 v4, 0, 0x100, vcc_lo
	v_ldexp_f64 v[49:50], v[49:50], v4
	v_cndmask_b32_e64 v4, 0, 0xffffff80, vcc_lo
	v_rsq_f64_e32 v[51:52], v[49:50]
	v_cmp_class_f64_e64 vcc_lo, v[49:50], 0x260
	v_mul_f64 v[53:54], v[49:50], v[51:52]
	v_mul_f64 v[51:52], v[51:52], 0.5
	v_fma_f64 v[55:56], -v[51:52], v[53:54], 0.5
	v_fma_f64 v[53:54], v[53:54], v[55:56], v[53:54]
	v_fma_f64 v[51:52], v[51:52], v[55:56], v[51:52]
	v_fma_f64 v[55:56], -v[53:54], v[53:54], v[49:50]
	v_fma_f64 v[53:54], v[55:56], v[51:52], v[53:54]
	v_fma_f64 v[55:56], -v[53:54], v[53:54], v[49:50]
	v_fma_f64 v[51:52], v[55:56], v[51:52], v[53:54]
	v_ldexp_f64 v[51:52], v[51:52], v4
	v_cndmask_b32_e32 v50, v52, v50, vcc_lo
	v_cndmask_b32_e32 v49, v51, v49, vcc_lo
	v_div_scale_f64 v[51:52], null, v[49:50], v[49:50], 1.0
	v_rcp_f64_e32 v[53:54], v[51:52]
	v_fma_f64 v[55:56], -v[51:52], v[53:54], 1.0
	v_fma_f64 v[53:54], v[53:54], v[55:56], v[53:54]
	v_fma_f64 v[55:56], -v[51:52], v[53:54], 1.0
	v_fma_f64 v[53:54], v[53:54], v[55:56], v[53:54]
	v_div_scale_f64 v[55:56], vcc_lo, 1.0, v[49:50], 1.0
	v_mul_f64 v[62:63], v[55:56], v[53:54]
	v_fma_f64 v[51:52], -v[51:52], v[62:63], v[55:56]
	v_div_fmas_f64 v[51:52], v[51:52], v[53:54], v[62:63]
	v_div_fixup_f64 v[49:50], v[51:52], v[49:50], 1.0
	v_mul_f64 v[47:48], v[47:48], v[49:50]
.LBB22_101:                             ;   in Loop: Header=BB22_95 Depth=3
	s_or_b32 exec_lo, exec_lo, s67
	v_mul_f64 v[45:46], v[45:46], v[49:50]
	v_fma_f64 v[51:52], v[31:32], v[47:48], -v[45:46]
.LBB22_102:                             ;   in Loop: Header=BB22_95 Depth=3
	s_andn2_saveexec_b32 s66, s66
; %bb.103:                              ;   in Loop: Header=BB22_95 Depth=3
	v_mov_b32_e32 v47, 0
	v_mov_b32_e32 v49, 0
	;; [unrolled: 1-line block ×4, first 2 shown]
; %bb.104:                              ;   in Loop: Header=BB22_95 Depth=3
	s_or_b32 exec_lo, exec_lo, s66
	v_mov_b32_e32 v31, v51
	v_mov_b32_e32 v32, v52
.LBB22_105:                             ;   in Loop: Header=BB22_95 Depth=3
	s_or_b32 exec_lo, exec_lo, s2
	s_cmp_eq_u32 s65, 0
	s_cbranch_scc1 .LBB22_94
; %bb.106:                              ;   in Loop: Header=BB22_95 Depth=3
	global_store_dwordx2 v[39:40], v[31:32], off
	s_branch .LBB22_94
.LBB22_107:                             ;   in Loop: Header=BB22_68 Depth=2
	ds_write2_b32 v9, v3, v27 offset0:5 offset1:7
	s_cbranch_execz .LBB22_80
	s_branch .LBB22_81
.LBB22_108:                             ;   in Loop: Header=BB22_68 Depth=2
	s_or_b32 exec_lo, exec_lo, s64
	ds_write_b64 v9, v[35:36]
.LBB22_109:                             ;   in Loop: Header=BB22_68 Depth=2
	s_or_b32 exec_lo, exec_lo, s63
	global_load_dwordx2 v[39:40], v[28:29], off
.LBB22_110:                             ;   in Loop: Header=BB22_68 Depth=2
	s_or_b32 exec_lo, exec_lo, s62
	s_waitcnt vmcnt(0)
	v_add_f64 v[3:4], v[39:40], -v[35:36]
                                        ; implicit-def: $vgpr27
                                        ; implicit-def: $vgpr39_vgpr40
	global_store_dwordx2 v[28:29], v[3:4], off
	global_store_dwordx2 v[5:6], v[31:32], off offset:-8
                                        ; implicit-def: $vgpr28_vgpr29
                                        ; implicit-def: $vgpr31_vgpr32
                                        ; implicit-def: $vgpr3
.LBB22_111:                             ;   in Loop: Header=BB22_68 Depth=2
	s_andn2_saveexec_b32 s58, s58
	s_cbranch_execz .LBB22_148
; %bb.112:                              ;   in Loop: Header=BB22_68 Depth=2
	v_ashrrev_i32_e32 v4, 31, v3
                                        ; implicit-def: $vgpr43_vgpr44
	v_lshlrev_b64 v[33:34], 3, v[3:4]
	v_add_co_u32 v3, vcc_lo, s18, v33
	v_add_co_ci_u32_e64 v4, null, s19, v34, vcc_lo
	v_add_co_u32 v5, vcc_lo, s10, v33
	v_add_co_ci_u32_e64 v6, null, s72, v34, vcc_lo
	global_load_dwordx2 v[3:4], v[3:4], off
	global_load_dwordx2 v[41:42], v[5:6], off
	s_waitcnt vmcnt(1)
	v_add_f64 v[37:38], v[3:4], -v[39:40]
	s_waitcnt vmcnt(0)
	v_add_f64 v[35:36], v[41:42], v[41:42]
	v_cmp_ngt_f64_e64 s2, |v[37:38]|, |v[35:36]|
	s_and_saveexec_b32 s62, s2
	s_xor_b32 s2, exec_lo, s62
	s_cbranch_execz .LBB22_118
; %bb.113:                              ;   in Loop: Header=BB22_68 Depth=2
	v_cmp_nlt_f64_e64 s62, |v[37:38]|, |v[35:36]|
                                        ; implicit-def: $vgpr43_vgpr44
	s_and_saveexec_b32 s63, s62
	s_xor_b32 s62, exec_lo, s63
; %bb.114:                              ;   in Loop: Header=BB22_68 Depth=2
	v_mul_f64 v[43:44], |v[35:36]|, s[60:61]
; %bb.115:                              ;   in Loop: Header=BB22_68 Depth=2
	s_andn2_saveexec_b32 s62, s62
	s_cbranch_execz .LBB22_117
; %bb.116:                              ;   in Loop: Header=BB22_68 Depth=2
	v_and_b32_e32 v6, 0x7fffffff, v38
	v_mov_b32_e32 v5, v37
	v_and_b32_e32 v44, 0x7fffffff, v36
	v_mov_b32_e32 v43, v35
	v_div_scale_f64 v[45:46], null, v[43:44], v[43:44], v[5:6]
	v_div_scale_f64 v[5:6], vcc_lo, v[5:6], v[43:44], v[5:6]
	v_rcp_f64_e32 v[47:48], v[45:46]
	v_fma_f64 v[49:50], -v[45:46], v[47:48], 1.0
	v_fma_f64 v[47:48], v[47:48], v[49:50], v[47:48]
	v_fma_f64 v[49:50], -v[45:46], v[47:48], 1.0
	v_fma_f64 v[43:44], v[47:48], v[49:50], v[47:48]
	v_mul_f64 v[47:48], v[5:6], v[43:44]
	v_fma_f64 v[5:6], -v[45:46], v[47:48], v[5:6]
	v_div_fmas_f64 v[5:6], v[5:6], v[43:44], v[47:48]
	v_div_fixup_f64 v[5:6], v[5:6], |v[35:36]|, |v[37:38]|
	v_fma_f64 v[5:6], v[5:6], v[5:6], 1.0
	v_cmp_gt_f64_e32 vcc_lo, 0x10000000, v[5:6]
	v_cndmask_b32_e64 v10, 0, 0x100, vcc_lo
	v_ldexp_f64 v[5:6], v[5:6], v10
	v_cndmask_b32_e64 v10, 0, 0xffffff80, vcc_lo
	v_rsq_f64_e32 v[43:44], v[5:6]
	v_cmp_class_f64_e64 vcc_lo, v[5:6], 0x260
	v_mul_f64 v[45:46], v[5:6], v[43:44]
	v_mul_f64 v[43:44], v[43:44], 0.5
	v_fma_f64 v[47:48], -v[43:44], v[45:46], 0.5
	v_fma_f64 v[45:46], v[45:46], v[47:48], v[45:46]
	v_fma_f64 v[43:44], v[43:44], v[47:48], v[43:44]
	v_fma_f64 v[47:48], -v[45:46], v[45:46], v[5:6]
	v_fma_f64 v[45:46], v[47:48], v[43:44], v[45:46]
	v_fma_f64 v[47:48], -v[45:46], v[45:46], v[5:6]
	v_fma_f64 v[43:44], v[47:48], v[43:44], v[45:46]
	v_ldexp_f64 v[43:44], v[43:44], v10
	v_cndmask_b32_e32 v6, v44, v6, vcc_lo
	v_cndmask_b32_e32 v5, v43, v5, vcc_lo
	v_mul_f64 v[43:44], |v[35:36]|, v[5:6]
.LBB22_117:                             ;   in Loop: Header=BB22_68 Depth=2
	s_or_b32 exec_lo, exec_lo, s62
.LBB22_118:                             ;   in Loop: Header=BB22_68 Depth=2
	s_andn2_saveexec_b32 s2, s2
	s_cbranch_execz .LBB22_120
; %bb.119:                              ;   in Loop: Header=BB22_68 Depth=2
	v_and_b32_e32 v6, 0x7fffffff, v36
	v_mov_b32_e32 v5, v35
	v_and_b32_e32 v44, 0x7fffffff, v38
	v_mov_b32_e32 v43, v37
	v_div_scale_f64 v[45:46], null, v[43:44], v[43:44], v[5:6]
	v_div_scale_f64 v[5:6], vcc_lo, v[5:6], v[43:44], v[5:6]
	v_rcp_f64_e32 v[47:48], v[45:46]
	v_fma_f64 v[49:50], -v[45:46], v[47:48], 1.0
	v_fma_f64 v[47:48], v[47:48], v[49:50], v[47:48]
	v_fma_f64 v[49:50], -v[45:46], v[47:48], 1.0
	v_fma_f64 v[43:44], v[47:48], v[49:50], v[47:48]
	v_mul_f64 v[47:48], v[5:6], v[43:44]
	v_fma_f64 v[5:6], -v[45:46], v[47:48], v[5:6]
	v_div_fmas_f64 v[5:6], v[5:6], v[43:44], v[47:48]
	v_div_fixup_f64 v[5:6], v[5:6], |v[37:38]|, |v[35:36]|
	v_fma_f64 v[5:6], v[5:6], v[5:6], 1.0
	v_cmp_gt_f64_e32 vcc_lo, 0x10000000, v[5:6]
	v_cndmask_b32_e64 v10, 0, 0x100, vcc_lo
	v_ldexp_f64 v[5:6], v[5:6], v10
	v_cndmask_b32_e64 v10, 0, 0xffffff80, vcc_lo
	v_rsq_f64_e32 v[43:44], v[5:6]
	v_cmp_class_f64_e64 vcc_lo, v[5:6], 0x260
	v_mul_f64 v[45:46], v[5:6], v[43:44]
	v_mul_f64 v[43:44], v[43:44], 0.5
	v_fma_f64 v[47:48], -v[43:44], v[45:46], 0.5
	v_fma_f64 v[45:46], v[45:46], v[47:48], v[45:46]
	v_fma_f64 v[43:44], v[43:44], v[47:48], v[43:44]
	v_fma_f64 v[47:48], -v[45:46], v[45:46], v[5:6]
	v_fma_f64 v[45:46], v[47:48], v[43:44], v[45:46]
	v_fma_f64 v[47:48], -v[45:46], v[45:46], v[5:6]
	v_fma_f64 v[43:44], v[47:48], v[43:44], v[45:46]
	v_ldexp_f64 v[43:44], v[43:44], v10
	v_cndmask_b32_e32 v6, v44, v6, vcc_lo
	v_cndmask_b32_e32 v5, v43, v5, vcc_lo
	v_mul_f64 v[43:44], |v[37:38]|, v[5:6]
.LBB22_120:                             ;   in Loop: Header=BB22_68 Depth=2
	s_or_b32 exec_lo, exec_lo, s2
	v_cmp_gt_f64_e64 vcc_lo, |v[3:4]|, |v[39:40]|
	v_add_f64 v[47:48], v[39:40], v[3:4]
	s_mov_b32 s62, exec_lo
	v_cndmask_b32_e32 v46, v4, v40, vcc_lo
	v_cndmask_b32_e32 v45, v3, v39, vcc_lo
	;; [unrolled: 1-line block ×4, first 2 shown]
                                        ; implicit-def: $vgpr5_vgpr6
	v_cmpx_ngt_f64_e32 0, v[47:48]
	s_xor_b32 s62, exec_lo, s62
	s_cbranch_execz .LBB22_126
; %bb.121:                              ;   in Loop: Header=BB22_68 Depth=2
	s_mov_b32 s2, exec_lo
                                        ; implicit-def: $vgpr5_vgpr6
	v_cmpx_nlt_f64_e32 0, v[47:48]
	s_xor_b32 s2, exec_lo, s2
	s_cbranch_execz .LBB22_123
; %bb.122:                              ;   in Loop: Header=BB22_68 Depth=2
	v_mul_f64 v[3:4], v[43:44], 0.5
	v_mul_f64 v[5:6], v[43:44], -0.5
                                        ; implicit-def: $vgpr47_vgpr48
                                        ; implicit-def: $vgpr39_vgpr40
                                        ; implicit-def: $vgpr41_vgpr42
                                        ; implicit-def: $vgpr45_vgpr46
.LBB22_123:                             ;   in Loop: Header=BB22_68 Depth=2
	s_andn2_saveexec_b32 s63, s2
	s_cbranch_execz .LBB22_125
; %bb.124:                              ;   in Loop: Header=BB22_68 Depth=2
	v_add_f64 v[3:4], v[47:48], v[43:44]
	v_mul_f64 v[3:4], v[3:4], 0.5
	v_div_scale_f64 v[5:6], null, v[3:4], v[3:4], v[39:40]
	v_div_scale_f64 v[47:48], null, v[3:4], v[3:4], v[41:42]
	v_div_scale_f64 v[62:63], vcc_lo, v[39:40], v[3:4], v[39:40]
	v_rcp_f64_e32 v[49:50], v[5:6]
	v_rcp_f64_e32 v[51:52], v[47:48]
	v_fma_f64 v[53:54], -v[5:6], v[49:50], 1.0
	v_fma_f64 v[55:56], -v[47:48], v[51:52], 1.0
	v_fma_f64 v[49:50], v[49:50], v[53:54], v[49:50]
	v_fma_f64 v[51:52], v[51:52], v[55:56], v[51:52]
	v_fma_f64 v[53:54], -v[5:6], v[49:50], 1.0
	v_fma_f64 v[55:56], -v[47:48], v[51:52], 1.0
	v_fma_f64 v[49:50], v[49:50], v[53:54], v[49:50]
	v_div_scale_f64 v[53:54], s2, v[41:42], v[3:4], v[41:42]
	v_fma_f64 v[51:52], v[51:52], v[55:56], v[51:52]
	v_mul_f64 v[55:56], v[62:63], v[49:50]
	v_mul_f64 v[64:65], v[53:54], v[51:52]
	v_fma_f64 v[5:6], -v[5:6], v[55:56], v[62:63]
	v_fma_f64 v[47:48], -v[47:48], v[64:65], v[53:54]
	v_div_fmas_f64 v[5:6], v[5:6], v[49:50], v[55:56]
	s_mov_b32 vcc_lo, s2
	v_div_fmas_f64 v[47:48], v[47:48], v[51:52], v[64:65]
	v_div_fixup_f64 v[5:6], v[5:6], v[3:4], v[39:40]
	v_div_fixup_f64 v[47:48], v[47:48], v[3:4], v[41:42]
	v_mul_f64 v[39:40], v[41:42], v[47:48]
	v_fma_f64 v[5:6], v[45:46], v[5:6], -v[39:40]
.LBB22_125:                             ;   in Loop: Header=BB22_68 Depth=2
	s_or_b32 exec_lo, exec_lo, s63
                                        ; implicit-def: $vgpr47_vgpr48
                                        ; implicit-def: $vgpr39_vgpr40
                                        ; implicit-def: $vgpr41_vgpr42
                                        ; implicit-def: $vgpr45_vgpr46
.LBB22_126:                             ;   in Loop: Header=BB22_68 Depth=2
	s_or_saveexec_b32 s62, s62
	v_mov_b32_e32 v10, 1
	s_xor_b32 exec_lo, exec_lo, s62
	s_cbranch_execz .LBB22_128
; %bb.127:                              ;   in Loop: Header=BB22_68 Depth=2
	v_add_f64 v[3:4], v[47:48], -v[43:44]
	v_mov_b32_e32 v10, -1
	v_mul_f64 v[3:4], v[3:4], 0.5
	v_div_scale_f64 v[5:6], null, v[3:4], v[3:4], v[39:40]
	v_div_scale_f64 v[47:48], null, v[3:4], v[3:4], v[41:42]
	v_div_scale_f64 v[62:63], vcc_lo, v[39:40], v[3:4], v[39:40]
	v_rcp_f64_e32 v[49:50], v[5:6]
	v_rcp_f64_e32 v[51:52], v[47:48]
	v_fma_f64 v[53:54], -v[5:6], v[49:50], 1.0
	v_fma_f64 v[55:56], -v[47:48], v[51:52], 1.0
	v_fma_f64 v[49:50], v[49:50], v[53:54], v[49:50]
	v_fma_f64 v[51:52], v[51:52], v[55:56], v[51:52]
	v_fma_f64 v[53:54], -v[5:6], v[49:50], 1.0
	v_fma_f64 v[55:56], -v[47:48], v[51:52], 1.0
	v_fma_f64 v[49:50], v[49:50], v[53:54], v[49:50]
	v_div_scale_f64 v[53:54], s2, v[41:42], v[3:4], v[41:42]
	v_fma_f64 v[51:52], v[51:52], v[55:56], v[51:52]
	v_mul_f64 v[55:56], v[62:63], v[49:50]
	v_mul_f64 v[64:65], v[53:54], v[51:52]
	v_fma_f64 v[5:6], -v[5:6], v[55:56], v[62:63]
	v_fma_f64 v[47:48], -v[47:48], v[64:65], v[53:54]
	v_div_fmas_f64 v[5:6], v[5:6], v[49:50], v[55:56]
	s_mov_b32 vcc_lo, s2
	v_div_fmas_f64 v[47:48], v[47:48], v[51:52], v[64:65]
	v_div_fixup_f64 v[5:6], v[5:6], v[3:4], v[39:40]
	v_div_fixup_f64 v[47:48], v[47:48], v[3:4], v[41:42]
	v_mul_f64 v[39:40], v[41:42], v[47:48]
	v_fma_f64 v[5:6], v[45:46], v[5:6], -v[39:40]
.LBB22_128:                             ;   in Loop: Header=BB22_68 Depth=2
	s_or_b32 exec_lo, exec_lo, s62
	s_mov_b32 s2, exec_lo
                                        ; implicit-def: $vgpr39_vgpr40
	v_cmpx_le_f64_e32 0, v[37:38]
	s_xor_b32 s2, exec_lo, s2
; %bb.129:                              ;   in Loop: Header=BB22_68 Depth=2
	v_add_f64 v[39:40], v[37:38], v[43:44]
                                        ; implicit-def: $vgpr37_vgpr38
                                        ; implicit-def: $vgpr43_vgpr44
; %bb.130:                              ;   in Loop: Header=BB22_68 Depth=2
	s_or_saveexec_b32 s2, s2
	v_mov_b32_e32 v30, 1
	s_xor_b32 exec_lo, exec_lo, s2
; %bb.131:                              ;   in Loop: Header=BB22_68 Depth=2
	v_add_f64 v[39:40], v[37:38], -v[43:44]
	v_mov_b32_e32 v30, -1
; %bb.132:                              ;   in Loop: Header=BB22_68 Depth=2
	s_or_b32 exec_lo, exec_lo, s2
	v_cmp_ngt_f64_e64 s2, |v[39:40]|, |v[35:36]|
                                        ; implicit-def: $vgpr37_vgpr38
                                        ; implicit-def: $vgpr41_vgpr42
	s_and_saveexec_b32 s62, s2
	s_xor_b32 s2, exec_lo, s62
	s_cbranch_execz .LBB22_136
; %bb.133:                              ;   in Loop: Header=BB22_68 Depth=2
	v_mov_b32_e32 v37, 0
	v_mov_b32_e32 v41, 0
	;; [unrolled: 1-line block ×4, first 2 shown]
	s_mov_b32 s62, exec_lo
	v_cmpx_neq_f64_e32 0, v[35:36]
	s_cbranch_execz .LBB22_135
; %bb.134:                              ;   in Loop: Header=BB22_68 Depth=2
	v_div_scale_f64 v[37:38], null, v[35:36], v[35:36], -v[39:40]
	v_div_scale_f64 v[45:46], vcc_lo, -v[39:40], v[35:36], -v[39:40]
	v_rcp_f64_e32 v[41:42], v[37:38]
	v_fma_f64 v[43:44], -v[37:38], v[41:42], 1.0
	v_fma_f64 v[41:42], v[41:42], v[43:44], v[41:42]
	v_fma_f64 v[43:44], -v[37:38], v[41:42], 1.0
	v_fma_f64 v[41:42], v[41:42], v[43:44], v[41:42]
	v_mul_f64 v[43:44], v[45:46], v[41:42]
	v_fma_f64 v[37:38], -v[37:38], v[43:44], v[45:46]
	v_div_fmas_f64 v[37:38], v[37:38], v[41:42], v[43:44]
	v_div_fixup_f64 v[35:36], v[37:38], v[35:36], -v[39:40]
	v_fma_f64 v[37:38], v[35:36], v[35:36], 1.0
	v_cmp_gt_f64_e32 vcc_lo, 0x10000000, v[37:38]
	v_cndmask_b32_e64 v39, 0, 0x100, vcc_lo
	v_ldexp_f64 v[37:38], v[37:38], v39
	v_rsq_f64_e32 v[39:40], v[37:38]
	v_mul_f64 v[41:42], v[37:38], v[39:40]
	v_mul_f64 v[39:40], v[39:40], 0.5
	v_fma_f64 v[43:44], -v[39:40], v[41:42], 0.5
	v_fma_f64 v[41:42], v[41:42], v[43:44], v[41:42]
	v_fma_f64 v[39:40], v[39:40], v[43:44], v[39:40]
	v_fma_f64 v[43:44], -v[41:42], v[41:42], v[37:38]
	v_fma_f64 v[41:42], v[43:44], v[39:40], v[41:42]
	v_fma_f64 v[43:44], -v[41:42], v[41:42], v[37:38]
	v_fma_f64 v[39:40], v[43:44], v[39:40], v[41:42]
	v_cndmask_b32_e64 v41, 0, 0xffffff80, vcc_lo
	v_cmp_class_f64_e64 vcc_lo, v[37:38], 0x260
	v_ldexp_f64 v[39:40], v[39:40], v41
	v_cndmask_b32_e32 v38, v40, v38, vcc_lo
	v_cndmask_b32_e32 v37, v39, v37, vcc_lo
	v_div_scale_f64 v[39:40], null, v[37:38], v[37:38], 1.0
	v_rcp_f64_e32 v[41:42], v[39:40]
	v_fma_f64 v[43:44], -v[39:40], v[41:42], 1.0
	v_fma_f64 v[41:42], v[41:42], v[43:44], v[41:42]
	v_fma_f64 v[43:44], -v[39:40], v[41:42], 1.0
	v_fma_f64 v[41:42], v[41:42], v[43:44], v[41:42]
	v_div_scale_f64 v[43:44], vcc_lo, 1.0, v[37:38], 1.0
	v_mul_f64 v[45:46], v[43:44], v[41:42]
	v_fma_f64 v[39:40], -v[39:40], v[45:46], v[43:44]
	v_div_fmas_f64 v[39:40], v[39:40], v[41:42], v[45:46]
	v_div_fixup_f64 v[41:42], v[39:40], v[37:38], 1.0
	v_mul_f64 v[37:38], v[35:36], v[41:42]
.LBB22_135:                             ;   in Loop: Header=BB22_68 Depth=2
	s_or_b32 exec_lo, exec_lo, s62
                                        ; implicit-def: $vgpr39_vgpr40
                                        ; implicit-def: $vgpr35_vgpr36
.LBB22_136:                             ;   in Loop: Header=BB22_68 Depth=2
	s_andn2_saveexec_b32 s2, s2
	s_cbranch_execz .LBB22_138
; %bb.137:                              ;   in Loop: Header=BB22_68 Depth=2
	v_div_scale_f64 v[37:38], null, v[39:40], v[39:40], -v[35:36]
	v_div_scale_f64 v[45:46], vcc_lo, -v[35:36], v[39:40], -v[35:36]
	v_rcp_f64_e32 v[41:42], v[37:38]
	v_fma_f64 v[43:44], -v[37:38], v[41:42], 1.0
	v_fma_f64 v[41:42], v[41:42], v[43:44], v[41:42]
	v_fma_f64 v[43:44], -v[37:38], v[41:42], 1.0
	v_fma_f64 v[41:42], v[41:42], v[43:44], v[41:42]
	v_mul_f64 v[43:44], v[45:46], v[41:42]
	v_fma_f64 v[37:38], -v[37:38], v[43:44], v[45:46]
	v_div_fmas_f64 v[37:38], v[37:38], v[41:42], v[43:44]
	v_div_fixup_f64 v[35:36], v[37:38], v[39:40], -v[35:36]
	v_fma_f64 v[37:38], v[35:36], v[35:36], 1.0
	v_cmp_gt_f64_e32 vcc_lo, 0x10000000, v[37:38]
	v_cndmask_b32_e64 v39, 0, 0x100, vcc_lo
	v_ldexp_f64 v[37:38], v[37:38], v39
	v_rsq_f64_e32 v[39:40], v[37:38]
	v_mul_f64 v[41:42], v[37:38], v[39:40]
	v_mul_f64 v[39:40], v[39:40], 0.5
	v_fma_f64 v[43:44], -v[39:40], v[41:42], 0.5
	v_fma_f64 v[41:42], v[41:42], v[43:44], v[41:42]
	v_fma_f64 v[39:40], v[39:40], v[43:44], v[39:40]
	v_fma_f64 v[43:44], -v[41:42], v[41:42], v[37:38]
	v_fma_f64 v[41:42], v[43:44], v[39:40], v[41:42]
	v_fma_f64 v[43:44], -v[41:42], v[41:42], v[37:38]
	v_fma_f64 v[39:40], v[43:44], v[39:40], v[41:42]
	v_cndmask_b32_e64 v41, 0, 0xffffff80, vcc_lo
	v_cmp_class_f64_e64 vcc_lo, v[37:38], 0x260
	v_ldexp_f64 v[39:40], v[39:40], v41
	v_cndmask_b32_e32 v38, v40, v38, vcc_lo
	v_cndmask_b32_e32 v37, v39, v37, vcc_lo
	v_div_scale_f64 v[39:40], null, v[37:38], v[37:38], 1.0
	v_rcp_f64_e32 v[41:42], v[39:40]
	v_fma_f64 v[43:44], -v[39:40], v[41:42], 1.0
	v_fma_f64 v[41:42], v[41:42], v[43:44], v[41:42]
	v_fma_f64 v[43:44], -v[39:40], v[41:42], 1.0
	v_fma_f64 v[41:42], v[41:42], v[43:44], v[41:42]
	v_div_scale_f64 v[43:44], vcc_lo, 1.0, v[37:38], 1.0
	v_mul_f64 v[45:46], v[43:44], v[41:42]
	v_fma_f64 v[39:40], -v[39:40], v[45:46], v[43:44]
	v_div_fmas_f64 v[39:40], v[39:40], v[41:42], v[45:46]
	v_div_fixup_f64 v[37:38], v[39:40], v[37:38], 1.0
	v_mul_f64 v[41:42], v[35:36], v[37:38]
.LBB22_138:                             ;   in Loop: Header=BB22_68 Depth=2
	s_or_b32 exec_lo, exec_lo, s2
	v_xor_b32_e32 v35, 0x80000000, v38
	v_cmp_eq_u32_e32 vcc_lo, v10, v30
	v_add_co_u32 v33, s2, s75, v33
	v_add_co_ci_u32_e64 v34, null, s76, v34, s2
	v_cndmask_b32_e32 v36, v42, v35, vcc_lo
	v_cndmask_b32_e32 v35, v41, v37, vcc_lo
	;; [unrolled: 1-line block ×4, first 2 shown]
	v_add_co_u32 v39, vcc_lo, v33, s44
	v_add_nc_u32_e32 v27, -2, v27
	v_add_co_ci_u32_e64 v40, null, s45, v34, vcc_lo
	v_add_co_u32 v30, vcc_lo, s10, v31
	v_add_co_ci_u32_e64 v31, null, s72, v32, vcc_lo
	v_mov_b32_e32 v10, v9
	global_store_dwordx2 v[33:34], v[35:36], off
	global_store_dwordx2 v[39:40], v[37:38], off offset:-8
	global_store_dwordx4 v[28:29], v[3:6], off offset:-8
	global_store_dwordx2 v[30:31], v[9:10], off offset:-8
	ds_write_b32 v9, v27 offset:16
	s_or_b32 exec_lo, exec_lo, s58
                                        ; implicit-def: $vgpr4
.LBB22_139:                             ;   in Loop: Header=BB22_68 Depth=2
	s_andn2_saveexec_b32 s2, s39
.LBB22_140:                             ;   in Loop: Header=BB22_68 Depth=2
	ds_write_b32 v9, v4 offset:16
.LBB22_141:                             ;   in Loop: Header=BB22_68 Depth=2
	s_or_b32 exec_lo, exec_lo, s2
.LBB22_142:                             ;   in Loop: Header=BB22_68 Depth=2
	s_or_b32 exec_lo, exec_lo, s3
	s_waitcnt lgkmcnt(0)
	s_waitcnt_vscnt null, 0x0
	s_barrier
	buffer_gl0_inv
	ds_read_b64 v[3:4], v9 offset:16
	s_waitcnt lgkmcnt(0)
	v_readfirstlane_b32 s2, v4
	v_cmp_eq_u32_e32 vcc_lo, s2, v3
	v_mov_b32_e32 v27, s2
	s_cbranch_vccnz .LBB22_67
; %bb.143:                              ;   in Loop: Header=BB22_68 Depth=2
	s_and_saveexec_b32 s39, s1
	s_cbranch_execz .LBB22_66
; %bb.144:                              ;   in Loop: Header=BB22_68 Depth=2
	ds_read_b32 v3, v9 offset:28
	s_ashr_i32 s3, s2, 31
	s_mul_i32 s64, s2, s11
	s_lshl_b64 s[62:63], s[2:3], 3
	v_mov_b32_e32 v29, v7
	s_waitcnt lgkmcnt(0)
	v_readfirstlane_b32 s58, v3
	s_sub_i32 s58, s58, s2
	s_add_u32 s62, s75, s62
	s_addc_u32 s63, s76, s63
	s_ashr_i32 s65, s64, 31
	s_mul_hi_i32 s3, s58, s42
	s_lshl_b64 s[66:67], s[64:65], 4
	s_mul_i32 s2, s58, s42
	s_add_u32 s64, s73, s66
	s_addc_u32 s65, s74, s67
	s_cmp_gt_i32 s58, 0
	v_add_co_u32 v27, vcc_lo, v8, s66
	v_add_co_ci_u32_e64 v28, null, s67, v58, vcc_lo
	s_cselect_b32 s66, -1, 0
	s_lshl_b64 s[2:3], s[2:3], 4
	s_mov_b32 s67, 0
	s_add_u32 s68, s64, s2
	s_addc_u32 s69, s65, s3
	s_branch .LBB22_146
.LBB22_145:                             ;   in Loop: Header=BB22_146 Depth=3
	v_add_nc_u32_e32 v29, s34, v29
	v_add_co_u32 v30, vcc_lo, s68, v30
	v_add_co_ci_u32_e64 v31, null, s69, v31, vcc_lo
	v_cmp_le_i32_e32 vcc_lo, s28, v29
	v_add_co_u32 v27, s2, v27, s56
	v_add_co_ci_u32_e64 v28, null, s57, v28, s2
	s_or_b32 s67, vcc_lo, s67
	s_waitcnt vmcnt(0)
	global_store_dwordx4 v[30:31], v[3:6], off
	s_andn2_b32 exec_lo, exec_lo, s67
	s_cbranch_execz .LBB22_66
.LBB22_146:                             ;   Parent Loop BB22_7 Depth=1
                                        ;     Parent Loop BB22_68 Depth=2
                                        ; =>    This Loop Header: Depth=3
                                        ;         Child Loop BB22_147 Depth 4
	v_ashrrev_i32_e32 v30, 31, v29
	v_mov_b32_e32 v33, v28
	v_mov_b32_e32 v32, v27
	s_mov_b64 s[2:3], s[62:63]
	s_mov_b32 s70, s58
	v_lshlrev_b64 v[30:31], 4, v[29:30]
	v_add_co_u32 v3, vcc_lo, s64, v30
	v_add_co_ci_u32_e64 v4, null, s65, v31, vcc_lo
	s_andn2_b32 vcc_lo, exec_lo, s66
	global_load_dwordx4 v[3:6], v[3:4], off
	s_cbranch_vccnz .LBB22_145
	.p2align	6
.LBB22_147:                             ;   Parent Loop BB22_7 Depth=1
                                        ;     Parent Loop BB22_68 Depth=2
                                        ;       Parent Loop BB22_146 Depth=3
                                        ; =>      This Inner Loop Header: Depth=4
	v_add_co_u32 v42, vcc_lo, v32, s54
	v_add_co_ci_u32_e64 v43, null, s55, v33, vcc_lo
	s_add_u32 s86, s2, s29
	s_addc_u32 s87, s3, s81
	s_add_i32 s70, s70, -1
	global_load_dwordx4 v[34:37], v[42:43], off offset:-8
	s_clause 0x1
	global_load_dwordx2 v[38:39], v9, s[86:87]
	global_load_dwordx2 v[44:45], v9, s[2:3]
	s_add_u32 s2, s2, 8
	s_addc_u32 s3, s3, 0
	s_cmp_eq_u32 s70, 0
	s_waitcnt vmcnt(1)
	v_mul_f64 v[40:41], v[38:39], v[34:35]
	v_mul_f64 v[46:47], v[38:39], v[36:37]
	;; [unrolled: 1-line block ×4, first 2 shown]
	s_waitcnt vmcnt(0)
	v_fma_f64 v[38:39], v[3:4], v[44:45], v[40:41]
	v_fma_f64 v[40:41], v[5:6], v[44:45], v[46:47]
	v_fma_f64 v[3:4], v[44:45], v[34:35], -v[48:49]
	v_fma_f64 v[5:6], v[44:45], v[36:37], -v[50:51]
	global_store_dwordx4 v[32:33], v[38:41], off offset:-8
	v_mov_b32_e32 v32, v42
	v_mov_b32_e32 v33, v43
	s_cbranch_scc0 .LBB22_147
	s_branch .LBB22_145
.LBB22_148:                             ;   in Loop: Header=BB22_68 Depth=2
	s_or_b32 exec_lo, exec_lo, s58
                                        ; implicit-def: $vgpr4
	s_andn2_saveexec_b32 s2, s39
	s_cbranch_execnz .LBB22_140
	s_branch .LBB22_141
.LBB22_149:                             ;   in Loop: Header=BB22_151 Depth=2
	s_or_b32 exec_lo, exec_lo, s39
	s_waitcnt_vscnt null, 0x0
	s_barrier
	buffer_gl0_inv
	ds_read_b32 v35, v9 offset:16
.LBB22_150:                             ;   in Loop: Header=BB22_151 Depth=2
	ds_read_b64 v[39:40], v9 offset:32
	s_waitcnt lgkmcnt(0)
	v_cmp_le_i32_e32 vcc_lo, v35, v39
	v_cmp_gt_i32_e64 s3, s33, v40
	s_and_b32 s3, vcc_lo, s3
	s_andn2_b32 vcc_lo, exec_lo, s3
	s_cbranch_vccnz .LBB22_50
.LBB22_151:                             ;   Parent Loop BB22_7 Depth=1
                                        ; =>  This Loop Header: Depth=2
                                        ;       Child Loop BB22_157 Depth 3
                                        ;       Child Loop BB22_177 Depth 3
	;; [unrolled: 1-line block ×3, first 2 shown]
                                        ;         Child Loop BB22_229 Depth 4
	s_and_saveexec_b32 s39, s0
	s_cbranch_execz .LBB22_224
; %bb.152:                              ;   in Loop: Header=BB22_151 Depth=2
	v_cmp_lt_i32_e32 vcc_lo, v35, v39
	s_mov_b32 s3, 0
	s_cbranch_vccnz .LBB22_154
; %bb.153:                              ;   in Loop: Header=BB22_151 Depth=2
	v_ashrrev_i32_e32 v36, 31, v35
	v_mov_b32_e32 v4, v35
	s_mov_b32 s58, -1
	v_mov_b32_e32 v5, v36
	v_mov_b32_e32 v3, v35
	s_cbranch_execz .LBB22_155
	s_branch .LBB22_160
.LBB22_154:                             ;   in Loop: Header=BB22_151 Depth=2
	s_mov_b32 s58, 0
                                        ; implicit-def: $vgpr4_vgpr5
	v_mov_b32_e32 v3, v35
.LBB22_155:                             ;   in Loop: Header=BB22_151 Depth=2
	v_ashrrev_i32_e32 v36, 31, v35
	v_mov_b32_e32 v10, v35
	v_lshlrev_b64 v[3:4], 3, v[35:36]
	v_add_co_u32 v5, vcc_lo, s10, v3
	v_add_co_ci_u32_e64 v6, null, s72, v4, vcc_lo
	v_add_co_u32 v3, vcc_lo, s77, v3
	v_add_co_ci_u32_e64 v4, null, s78, v4, vcc_lo
	s_branch .LBB22_157
	.p2align	6
.LBB22_156:                             ;   in Loop: Header=BB22_157 Depth=3
	v_add_nc_u32_e32 v10, 1, v28
	v_add_co_u32 v5, vcc_lo, v31, 8
	v_add_co_ci_u32_e64 v6, null, 0, v32, vcc_lo
	v_add_co_u32 v3, vcc_lo, v3, 8
	v_add_co_ci_u32_e64 v4, null, 0, v4, vcc_lo
	v_cmp_ge_i32_e64 s58, v10, v39
	s_mov_b32 s3, 0
	s_andn2_b32 vcc_lo, exec_lo, s58
	s_cbranch_vccz .LBB22_159
.LBB22_157:                             ;   Parent Loop BB22_7 Depth=1
                                        ;     Parent Loop BB22_151 Depth=2
                                        ; =>    This Inner Loop Header: Depth=3
	global_load_dwordx4 v[41:44], v[3:4], off
	v_mov_b32_e32 v32, v6
	v_mov_b32_e32 v31, v5
	global_load_dwordx2 v[5:6], v[5:6], off
	v_mov_b32_e32 v28, v10
	s_waitcnt vmcnt(1)
	v_mul_f64 v[33:34], v[41:42], v[43:44]
	s_waitcnt vmcnt(0)
	v_mul_f64 v[5:6], v[5:6], v[5:6]
	v_mul_f64 v[33:34], v[11:12], |v[33:34]|
	v_cmp_le_f64_e64 s3, |v[5:6]|, v[33:34]
	s_and_b32 vcc_lo, exec_lo, s3
	s_cbranch_vccz .LBB22_156
; %bb.158:                              ;   in Loop: Header=BB22_151 Depth=2
	s_mov_b32 s3, -1
                                        ; implicit-def: $vgpr10
                                        ; implicit-def: $vgpr5_vgpr6
                                        ; implicit-def: $vgpr3_vgpr4
.LBB22_159:                             ;   in Loop: Header=BB22_151 Depth=2
	v_mov_b32_e32 v33, v35
	v_mov_b32_e32 v4, v35
	;; [unrolled: 1-line block ×5, first 2 shown]
	s_xor_b32 s58, s3, -1
	s_mov_b32 s3, -1
.LBB22_160:                             ;   in Loop: Header=BB22_151 Depth=2
	s_and_b32 vcc_lo, exec_lo, s58
	s_cbranch_vccnz .LBB22_189
; %bb.161:                              ;   in Loop: Header=BB22_151 Depth=2
	s_andn2_b32 vcc_lo, exec_lo, s3
	s_cbranch_vccnz .LBB22_163
.LBB22_162:                             ;   in Loop: Header=BB22_151 Depth=2
	v_mov_b32_e32 v4, v33
	v_mov_b32_e32 v10, v9
	;; [unrolled: 1-line block ×4, first 2 shown]
	ds_write2_b32 v9, v28, v35 offset0:5 offset1:7
	global_store_dwordx2 v[31:32], v[9:10], off
.LBB22_163:                             ;   in Loop: Header=BB22_151 Depth=2
	v_lshlrev_b64 v[38:39], 3, v[4:5]
	v_add_nc_u32_e32 v4, 1, v35
	s_mov_b32 s3, exec_lo
	v_add_co_u32 v36, vcc_lo, s18, v38
	v_add_co_ci_u32_e64 v37, null, s19, v39, vcc_lo
	global_load_dwordx2 v[46:47], v[36:37], off
	s_waitcnt vmcnt(0)
	ds_write_b64 v9, v[46:47]
	v_cmpx_ne_u32_e64 v3, v35
	s_xor_b32 s58, exec_lo, s3
	s_cbranch_execz .LBB22_221
; %bb.164:                              ;   in Loop: Header=BB22_151 Depth=2
	s_mov_b32 s3, exec_lo
	v_cmpx_ne_u32_e64 v3, v4
	s_xor_b32 s70, exec_lo, s3
	s_cbranch_execz .LBB22_193
; %bb.165:                              ;   in Loop: Header=BB22_151 Depth=2
	v_add_co_u32 v5, vcc_lo, s10, v38
	v_add_co_ci_u32_e64 v6, null, s72, v39, vcc_lo
	global_load_dwordx2 v[38:39], v[36:37], off offset:8
	global_load_dwordx2 v[41:42], v[5:6], off
	s_waitcnt vmcnt(1)
	v_add_f64 v[38:39], v[38:39], -v[46:47]
	s_waitcnt vmcnt(0)
	v_add_f64 v[43:44], v[41:42], v[41:42]
	v_div_scale_f64 v[48:49], null, v[43:44], v[43:44], v[38:39]
	v_div_scale_f64 v[54:55], vcc_lo, v[38:39], v[43:44], v[38:39]
	v_rcp_f64_e32 v[50:51], v[48:49]
	v_fma_f64 v[52:53], -v[48:49], v[50:51], 1.0
	v_fma_f64 v[50:51], v[50:51], v[52:53], v[50:51]
	v_fma_f64 v[52:53], -v[48:49], v[50:51], 1.0
	v_fma_f64 v[50:51], v[50:51], v[52:53], v[50:51]
	v_mul_f64 v[52:53], v[54:55], v[50:51]
	v_fma_f64 v[48:49], -v[48:49], v[52:53], v[54:55]
	v_div_fmas_f64 v[48:49], v[48:49], v[50:51], v[52:53]
	v_div_fixup_f64 v[38:39], v[48:49], v[43:44], v[38:39]
	v_fma_f64 v[43:44], v[38:39], v[38:39], 1.0
	v_cmp_gt_f64_e32 vcc_lo, 0x10000000, v[43:44]
	v_cndmask_b32_e64 v4, 0, 0x100, vcc_lo
	v_ldexp_f64 v[52:53], v[43:44], v4
	v_ashrrev_i32_e32 v4, 31, v3
	v_rsq_f64_e32 v[43:44], v[52:53]
	v_mul_f64 v[48:49], v[52:53], v[43:44]
	v_mul_f64 v[43:44], v[43:44], 0.5
	v_fma_f64 v[50:51], -v[43:44], v[48:49], 0.5
	v_fma_f64 v[54:55], v[48:49], v[50:51], v[48:49]
	v_fma_f64 v[56:57], v[43:44], v[50:51], v[43:44]
	v_lshlrev_b64 v[48:49], 3, v[3:4]
	v_cndmask_b32_e64 v4, 0, 0xffffff80, vcc_lo
	v_cmp_class_f64_e64 vcc_lo, v[52:53], 0x260
	v_fma_f64 v[43:44], -v[54:55], v[54:55], v[52:53]
	v_fma_f64 v[54:55], v[43:44], v[56:57], v[54:55]
	v_add_co_u32 v44, s3, s18, v48
	v_add_co_ci_u32_e64 v45, null, s19, v49, s3
	s_mov_b32 s3, exec_lo
	global_load_dwordx2 v[50:51], v[44:45], off
	v_fma_f64 v[62:63], -v[54:55], v[54:55], v[52:53]
	v_fma_f64 v[54:55], v[62:63], v[56:57], v[54:55]
	v_ldexp_f64 v[54:55], v[54:55], v4
	v_cndmask_b32_e32 v4, v55, v53, vcc_lo
	v_cndmask_b32_e32 v52, v54, v52, vcc_lo
	v_cmp_nle_f64_e32 vcc_lo, 0, v[38:39]
	v_and_b32_e32 v10, 0x7fffffff, v4
	v_or_b32_e32 v4, 0x80000000, v4
	v_cndmask_b32_e32 v53, v10, v4, vcc_lo
	v_add_nc_u32_e32 v4, 1, v40
	v_mov_b32_e32 v10, v9
	ds_write_b32 v9, v4 offset:36
	ds_write_b64 v9, v[9:10]
	v_add_f64 v[38:39], v[38:39], v[52:53]
	v_div_scale_f64 v[52:53], null, v[38:39], v[38:39], v[41:42]
	v_rcp_f64_e32 v[54:55], v[52:53]
	v_fma_f64 v[56:57], -v[52:53], v[54:55], 1.0
	v_fma_f64 v[54:55], v[54:55], v[56:57], v[54:55]
	v_fma_f64 v[56:57], -v[52:53], v[54:55], 1.0
	v_fma_f64 v[54:55], v[54:55], v[56:57], v[54:55]
	v_div_scale_f64 v[56:57], vcc_lo, v[41:42], v[38:39], v[41:42]
	v_mul_f64 v[62:63], v[56:57], v[54:55]
	v_fma_f64 v[52:53], -v[52:53], v[62:63], v[56:57]
	v_div_fmas_f64 v[52:53], v[52:53], v[54:55], v[62:63]
	s_waitcnt vmcnt(0)
	v_add_f64 v[54:55], v[50:51], -v[46:47]
	v_div_fixup_f64 v[38:39], v[52:53], v[38:39], v[41:42]
	v_mov_b32_e32 v40, 0
	v_mov_b32_e32 v41, 0
	v_add_f64 v[38:39], v[54:55], v[38:39]
	v_cmpx_gt_i32_e64 v3, v35
	s_cbranch_execz .LBB22_192
; %bb.166:                              ;   in Loop: Header=BB22_151 Depth=2
	v_add_co_u32 v40, vcc_lo, s10, v48
	v_add_co_ci_u32_e64 v41, null, s72, v49, vcc_lo
	v_mov_b32_e32 v52, 0
	v_mov_b32_e32 v42, 0
	v_mov_b32_e32 v53, 0
	global_load_dwordx2 v[46:47], v[40:41], off offset:-8
	v_mov_b32_e32 v43, 0x3ff00000
	s_mov_b32 s62, exec_lo
	s_waitcnt vmcnt(0)
	v_cmpx_neq_f64_e32 0, v[46:47]
	s_cbranch_execz .LBB22_174
; %bb.167:                              ;   in Loop: Header=BB22_151 Depth=2
	v_mov_b32_e32 v42, 0
	v_mov_b32_e32 v52, 0
	v_mov_b32_e32 v43, 0
	v_mov_b32_e32 v53, 0x3ff00000
	s_mov_b32 s63, exec_lo
	v_cmpx_neq_f64_e32 0, v[38:39]
	s_cbranch_execz .LBB22_173
; %bb.168:                              ;   in Loop: Header=BB22_151 Depth=2
	v_cmp_ngt_f64_e64 s64, |v[46:47]|, |v[38:39]|
                                        ; implicit-def: $vgpr52_vgpr53
                                        ; implicit-def: $vgpr42_vgpr43
	s_and_saveexec_b32 s65, s64
	s_xor_b32 s64, exec_lo, s65
	s_cbranch_execz .LBB22_170
; %bb.169:                              ;   in Loop: Header=BB22_151 Depth=2
	v_div_scale_f64 v[40:41], null, v[38:39], v[38:39], -v[46:47]
	v_div_scale_f64 v[54:55], vcc_lo, -v[46:47], v[38:39], -v[46:47]
	v_rcp_f64_e32 v[42:43], v[40:41]
	v_fma_f64 v[52:53], -v[40:41], v[42:43], 1.0
	v_fma_f64 v[42:43], v[42:43], v[52:53], v[42:43]
	v_fma_f64 v[52:53], -v[40:41], v[42:43], 1.0
	v_fma_f64 v[42:43], v[42:43], v[52:53], v[42:43]
	v_mul_f64 v[52:53], v[54:55], v[42:43]
	v_fma_f64 v[40:41], -v[40:41], v[52:53], v[54:55]
	v_div_fmas_f64 v[40:41], v[40:41], v[42:43], v[52:53]
	v_div_fixup_f64 v[38:39], v[40:41], v[38:39], -v[46:47]
	v_fma_f64 v[40:41], v[38:39], v[38:39], 1.0
	v_cmp_gt_f64_e32 vcc_lo, 0x10000000, v[40:41]
	v_cndmask_b32_e64 v4, 0, 0x100, vcc_lo
	v_ldexp_f64 v[40:41], v[40:41], v4
	v_cndmask_b32_e64 v4, 0, 0xffffff80, vcc_lo
	v_rsq_f64_e32 v[42:43], v[40:41]
	v_cmp_class_f64_e64 vcc_lo, v[40:41], 0x260
	v_mul_f64 v[52:53], v[40:41], v[42:43]
	v_mul_f64 v[42:43], v[42:43], 0.5
	v_fma_f64 v[54:55], -v[42:43], v[52:53], 0.5
	v_fma_f64 v[52:53], v[52:53], v[54:55], v[52:53]
	v_fma_f64 v[42:43], v[42:43], v[54:55], v[42:43]
	v_fma_f64 v[54:55], -v[52:53], v[52:53], v[40:41]
	v_fma_f64 v[52:53], v[54:55], v[42:43], v[52:53]
	v_fma_f64 v[54:55], -v[52:53], v[52:53], v[40:41]
	v_fma_f64 v[42:43], v[54:55], v[42:43], v[52:53]
	v_ldexp_f64 v[42:43], v[42:43], v4
	v_cndmask_b32_e32 v41, v43, v41, vcc_lo
	v_cndmask_b32_e32 v40, v42, v40, vcc_lo
	v_div_scale_f64 v[42:43], null, v[40:41], v[40:41], 1.0
	v_rcp_f64_e32 v[52:53], v[42:43]
	v_fma_f64 v[54:55], -v[42:43], v[52:53], 1.0
	v_fma_f64 v[52:53], v[52:53], v[54:55], v[52:53]
	v_fma_f64 v[54:55], -v[42:43], v[52:53], 1.0
	v_fma_f64 v[52:53], v[52:53], v[54:55], v[52:53]
	v_div_scale_f64 v[54:55], vcc_lo, 1.0, v[40:41], 1.0
	v_mul_f64 v[56:57], v[54:55], v[52:53]
	v_fma_f64 v[42:43], -v[42:43], v[56:57], v[54:55]
	v_div_fmas_f64 v[42:43], v[42:43], v[52:53], v[56:57]
	v_div_fixup_f64 v[42:43], v[42:43], v[40:41], 1.0
	v_mul_f64 v[52:53], v[38:39], v[42:43]
                                        ; implicit-def: $vgpr38_vgpr39
.LBB22_170:                             ;   in Loop: Header=BB22_151 Depth=2
	s_andn2_saveexec_b32 s64, s64
	s_cbranch_execz .LBB22_172
; %bb.171:                              ;   in Loop: Header=BB22_151 Depth=2
	v_div_scale_f64 v[40:41], null, v[46:47], v[46:47], -v[38:39]
	v_div_scale_f64 v[54:55], vcc_lo, -v[38:39], v[46:47], -v[38:39]
	v_rcp_f64_e32 v[42:43], v[40:41]
	v_fma_f64 v[52:53], -v[40:41], v[42:43], 1.0
	v_fma_f64 v[42:43], v[42:43], v[52:53], v[42:43]
	v_fma_f64 v[52:53], -v[40:41], v[42:43], 1.0
	v_fma_f64 v[42:43], v[42:43], v[52:53], v[42:43]
	v_mul_f64 v[52:53], v[54:55], v[42:43]
	v_fma_f64 v[40:41], -v[40:41], v[52:53], v[54:55]
	v_div_fmas_f64 v[40:41], v[40:41], v[42:43], v[52:53]
	v_div_fixup_f64 v[38:39], v[40:41], v[46:47], -v[38:39]
	v_fma_f64 v[40:41], v[38:39], v[38:39], 1.0
	v_cmp_gt_f64_e32 vcc_lo, 0x10000000, v[40:41]
	v_cndmask_b32_e64 v4, 0, 0x100, vcc_lo
	v_ldexp_f64 v[40:41], v[40:41], v4
	v_cndmask_b32_e64 v4, 0, 0xffffff80, vcc_lo
	v_rsq_f64_e32 v[42:43], v[40:41]
	v_cmp_class_f64_e64 vcc_lo, v[40:41], 0x260
	v_mul_f64 v[52:53], v[40:41], v[42:43]
	v_mul_f64 v[42:43], v[42:43], 0.5
	v_fma_f64 v[54:55], -v[42:43], v[52:53], 0.5
	v_fma_f64 v[52:53], v[52:53], v[54:55], v[52:53]
	v_fma_f64 v[42:43], v[42:43], v[54:55], v[42:43]
	v_fma_f64 v[54:55], -v[52:53], v[52:53], v[40:41]
	v_fma_f64 v[52:53], v[54:55], v[42:43], v[52:53]
	v_fma_f64 v[54:55], -v[52:53], v[52:53], v[40:41]
	v_fma_f64 v[42:43], v[54:55], v[42:43], v[52:53]
	v_ldexp_f64 v[42:43], v[42:43], v4
	v_cndmask_b32_e32 v41, v43, v41, vcc_lo
	v_cndmask_b32_e32 v40, v42, v40, vcc_lo
	v_div_scale_f64 v[42:43], null, v[40:41], v[40:41], 1.0
	v_rcp_f64_e32 v[52:53], v[42:43]
	v_fma_f64 v[54:55], -v[42:43], v[52:53], 1.0
	v_fma_f64 v[52:53], v[52:53], v[54:55], v[52:53]
	v_fma_f64 v[54:55], -v[42:43], v[52:53], 1.0
	v_fma_f64 v[52:53], v[52:53], v[54:55], v[52:53]
	v_div_scale_f64 v[54:55], vcc_lo, 1.0, v[40:41], 1.0
	v_mul_f64 v[56:57], v[54:55], v[52:53]
	v_fma_f64 v[42:43], -v[42:43], v[56:57], v[54:55]
	v_div_fmas_f64 v[42:43], v[42:43], v[52:53], v[56:57]
	v_div_fixup_f64 v[52:53], v[42:43], v[40:41], 1.0
	v_mul_f64 v[42:43], v[38:39], v[52:53]
.LBB22_172:                             ;   in Loop: Header=BB22_151 Depth=2
	s_or_b32 exec_lo, exec_lo, s64
.LBB22_173:                             ;   in Loop: Header=BB22_151 Depth=2
	s_or_b32 exec_lo, exec_lo, s63
.LBB22_174:                             ;   in Loop: Header=BB22_151 Depth=2
	s_or_b32 exec_lo, exec_lo, s62
	global_load_dwordx2 v[38:39], v[44:45], off offset:-8
	v_add_f64 v[40:41], v[42:43], v[42:43]
	s_mov_b32 s71, exec_lo
	s_waitcnt vmcnt(0)
	v_add_f64 v[38:39], v[38:39], -v[50:51]
	v_mul_f64 v[38:39], v[52:53], v[38:39]
	v_fma_f64 v[38:39], v[46:47], v[40:41], -v[38:39]
	v_mul_f64 v[40:41], v[38:39], -v[52:53]
	v_fma_f64 v[50:51], v[38:39], -v[52:53], v[50:51]
	v_fma_f64 v[38:39], v[42:43], v[38:39], -v[46:47]
	v_add_co_u32 v47, vcc_lo, s75, v48
	v_add_co_ci_u32_e64 v48, null, s76, v49, vcc_lo
	v_add_nc_u32_e32 v46, -1, v3
	v_add_co_u32 v4, vcc_lo, v47, -8
	v_add_co_ci_u32_e64 v10, null, -1, v48, vcc_lo
	v_add_co_u32 v54, vcc_lo, v4, s44
	v_add_co_ci_u32_e64 v55, null, s45, v10, vcc_lo
	ds_write_b64 v9, v[40:41]
	global_store_dwordx2 v[44:45], v[50:51], off
	global_store_dwordx2 v[47:48], v[42:43], off offset:-8
	global_store_dwordx2 v[54:55], v[52:53], off offset:-8
	v_cmpx_gt_i32_e64 v46, v35
	s_cbranch_execz .LBB22_191
; %bb.175:                              ;   in Loop: Header=BB22_151 Depth=2
	v_ashrrev_i32_e32 v47, 31, v46
	v_xor_b32_e32 v53, 0x80000000, v53
	s_mov_b32 s85, -1
	s_mov_b32 s86, 0
	s_mov_b64 s[62:63], s[52:53]
	v_lshlrev_b64 v[44:45], 3, v[46:47]
	s_mov_b64 s[64:65], s[18:19]
	s_mov_b64 s[66:67], s[50:51]
	;; [unrolled: 1-line block ×3, first 2 shown]
	s_branch .LBB22_177
.LBB22_176:                             ;   in Loop: Header=BB22_177 Depth=3
	v_add_co_u32 v48, vcc_lo, s64, v44
	v_add_co_ci_u32_e64 v49, null, s65, v45, vcc_lo
	v_mul_f64 v[42:43], v[42:43], v[46:47]
	v_add_f64 v[46:47], v[54:55], v[54:55]
	v_add_co_u32 v56, vcc_lo, s66, v44
	global_load_dwordx4 v[62:65], v[48:49], off offset:-8
	v_add_co_ci_u32_e64 v57, null, s67, v45, vcc_lo
	v_xor_b32_e32 v53, 0x80000000, v51
	v_mov_b32_e32 v52, v50
	s_waitcnt vmcnt(0)
	v_add_f64 v[38:39], v[64:65], -v[40:41]
	v_add_f64 v[40:41], v[62:63], -v[38:39]
	v_mul_f64 v[40:41], v[50:51], v[40:41]
	v_fma_f64 v[46:47], v[42:43], v[46:47], -v[40:41]
	v_mul_f64 v[40:41], v[46:47], -v[50:51]
	v_fma_f64 v[62:63], v[46:47], -v[50:51], v[38:39]
	v_fma_f64 v[38:39], v[54:55], v[46:47], -v[42:43]
	v_add_co_u32 v46, vcc_lo, s68, v44
	s_add_u32 s68, s68, -8
	v_add_co_ci_u32_e64 v47, null, s69, v45, vcc_lo
	s_addc_u32 s69, s69, -1
	s_add_u32 s66, s66, -8
	s_addc_u32 s67, s67, -1
	s_add_i32 s85, s85, -1
	v_mov_b32_e32 v42, v54
	v_add_nc_u32_e32 v4, s85, v3
	s_add_u32 s64, s64, -8
	v_mov_b32_e32 v43, v55
	s_addc_u32 s65, s65, -1
	s_add_u32 s62, s62, -8
	v_cmp_le_i32_e32 vcc_lo, v4, v35
	s_addc_u32 s63, s63, -1
	global_store_dwordx2 v[48:49], v[62:63], off
	global_store_dwordx2 v[56:57], v[54:55], off
	;; [unrolled: 1-line block ×3, first 2 shown]
	s_or_b32 s86, vcc_lo, s86
	s_andn2_b32 exec_lo, exec_lo, s86
	s_cbranch_execz .LBB22_190
.LBB22_177:                             ;   Parent Loop BB22_7 Depth=1
                                        ;     Parent Loop BB22_151 Depth=2
                                        ; =>    This Inner Loop Header: Depth=3
	v_add_co_u32 v48, vcc_lo, s62, v44
	v_add_co_ci_u32_e64 v49, null, s63, v45, vcc_lo
	v_mov_b32_e32 v50, 0
	v_mov_b32_e32 v54, 0
	;; [unrolled: 1-line block ×3, first 2 shown]
	global_load_dwordx2 v[46:47], v[48:49], off
	v_mov_b32_e32 v55, 0x3ff00000
	s_mov_b32 s87, exec_lo
	s_waitcnt vmcnt(0)
	v_mul_f64 v[52:53], v[52:53], v[46:47]
	v_cmpx_neq_f64_e32 0, v[52:53]
	s_cbranch_execz .LBB22_187
; %bb.178:                              ;   in Loop: Header=BB22_177 Depth=3
	v_xor_b32_e32 v57, 0x80000000, v53
	v_mov_b32_e32 v56, v52
	s_mov_b32 s88, exec_lo
                                        ; implicit-def: $vgpr50_vgpr51
                                        ; implicit-def: $vgpr54_vgpr55
	v_cmpx_neq_f64_e32 0, v[38:39]
	s_xor_b32 s88, exec_lo, s88
	s_cbranch_execz .LBB22_184
; %bb.179:                              ;   in Loop: Header=BB22_177 Depth=3
	v_cmp_ngt_f64_e64 s89, |v[52:53]|, |v[38:39]|
                                        ; implicit-def: $vgpr50_vgpr51
                                        ; implicit-def: $vgpr54_vgpr55
	s_and_saveexec_b32 s90, s89
	s_xor_b32 s89, exec_lo, s90
	s_cbranch_execz .LBB22_181
; %bb.180:                              ;   in Loop: Header=BB22_177 Depth=3
	v_div_scale_f64 v[50:51], null, v[38:39], v[38:39], -v[52:53]
	v_div_scale_f64 v[62:63], vcc_lo, -v[52:53], v[38:39], -v[52:53]
	v_rcp_f64_e32 v[54:55], v[50:51]
	v_fma_f64 v[56:57], -v[50:51], v[54:55], 1.0
	v_fma_f64 v[54:55], v[54:55], v[56:57], v[54:55]
	v_fma_f64 v[56:57], -v[50:51], v[54:55], 1.0
	v_fma_f64 v[54:55], v[54:55], v[56:57], v[54:55]
	v_mul_f64 v[56:57], v[62:63], v[54:55]
	v_fma_f64 v[50:51], -v[50:51], v[56:57], v[62:63]
	v_div_fmas_f64 v[50:51], v[50:51], v[54:55], v[56:57]
	v_div_fixup_f64 v[50:51], v[50:51], v[38:39], -v[52:53]
	v_fma_f64 v[54:55], v[50:51], v[50:51], 1.0
	v_cmp_gt_f64_e32 vcc_lo, 0x10000000, v[54:55]
	v_cndmask_b32_e64 v4, 0, 0x100, vcc_lo
	v_ldexp_f64 v[54:55], v[54:55], v4
	v_cndmask_b32_e64 v4, 0, 0xffffff80, vcc_lo
	v_rsq_f64_e32 v[56:57], v[54:55]
	v_cmp_class_f64_e64 vcc_lo, v[54:55], 0x260
	v_mul_f64 v[62:63], v[54:55], v[56:57]
	v_mul_f64 v[56:57], v[56:57], 0.5
	v_fma_f64 v[64:65], -v[56:57], v[62:63], 0.5
	v_fma_f64 v[62:63], v[62:63], v[64:65], v[62:63]
	v_fma_f64 v[56:57], v[56:57], v[64:65], v[56:57]
	v_fma_f64 v[64:65], -v[62:63], v[62:63], v[54:55]
	v_fma_f64 v[62:63], v[64:65], v[56:57], v[62:63]
	v_fma_f64 v[64:65], -v[62:63], v[62:63], v[54:55]
	v_fma_f64 v[56:57], v[64:65], v[56:57], v[62:63]
	v_ldexp_f64 v[56:57], v[56:57], v4
	v_cndmask_b32_e32 v55, v57, v55, vcc_lo
	v_cndmask_b32_e32 v54, v56, v54, vcc_lo
	v_div_scale_f64 v[56:57], null, v[54:55], v[54:55], 1.0
	v_rcp_f64_e32 v[62:63], v[56:57]
	v_fma_f64 v[64:65], -v[56:57], v[62:63], 1.0
	v_fma_f64 v[62:63], v[62:63], v[64:65], v[62:63]
	v_fma_f64 v[64:65], -v[56:57], v[62:63], 1.0
	v_fma_f64 v[62:63], v[62:63], v[64:65], v[62:63]
	v_div_scale_f64 v[64:65], vcc_lo, 1.0, v[54:55], 1.0
	v_mul_f64 v[66:67], v[64:65], v[62:63]
	v_fma_f64 v[56:57], -v[56:57], v[66:67], v[64:65]
	v_div_fmas_f64 v[56:57], v[56:57], v[62:63], v[66:67]
	v_div_fixup_f64 v[54:55], v[56:57], v[54:55], 1.0
	v_mul_f64 v[50:51], v[50:51], v[54:55]
.LBB22_181:                             ;   in Loop: Header=BB22_177 Depth=3
	s_andn2_saveexec_b32 s89, s89
	s_cbranch_execz .LBB22_183
; %bb.182:                              ;   in Loop: Header=BB22_177 Depth=3
	v_div_scale_f64 v[50:51], null, v[52:53], v[52:53], -v[38:39]
	v_div_scale_f64 v[62:63], vcc_lo, -v[38:39], v[52:53], -v[38:39]
	v_rcp_f64_e32 v[54:55], v[50:51]
	v_fma_f64 v[56:57], -v[50:51], v[54:55], 1.0
	v_fma_f64 v[54:55], v[54:55], v[56:57], v[54:55]
	v_fma_f64 v[56:57], -v[50:51], v[54:55], 1.0
	v_fma_f64 v[54:55], v[54:55], v[56:57], v[54:55]
	v_mul_f64 v[56:57], v[62:63], v[54:55]
	v_fma_f64 v[50:51], -v[50:51], v[56:57], v[62:63]
	v_div_fmas_f64 v[50:51], v[50:51], v[54:55], v[56:57]
	v_div_fixup_f64 v[54:55], v[50:51], v[52:53], -v[38:39]
	v_fma_f64 v[50:51], v[54:55], v[54:55], 1.0
	v_cmp_gt_f64_e32 vcc_lo, 0x10000000, v[50:51]
	v_cndmask_b32_e64 v4, 0, 0x100, vcc_lo
	v_ldexp_f64 v[50:51], v[50:51], v4
	v_cndmask_b32_e64 v4, 0, 0xffffff80, vcc_lo
	v_rsq_f64_e32 v[56:57], v[50:51]
	v_cmp_class_f64_e64 vcc_lo, v[50:51], 0x260
	v_mul_f64 v[62:63], v[50:51], v[56:57]
	v_mul_f64 v[56:57], v[56:57], 0.5
	v_fma_f64 v[64:65], -v[56:57], v[62:63], 0.5
	v_fma_f64 v[62:63], v[62:63], v[64:65], v[62:63]
	v_fma_f64 v[56:57], v[56:57], v[64:65], v[56:57]
	v_fma_f64 v[64:65], -v[62:63], v[62:63], v[50:51]
	v_fma_f64 v[62:63], v[64:65], v[56:57], v[62:63]
	v_fma_f64 v[64:65], -v[62:63], v[62:63], v[50:51]
	v_fma_f64 v[56:57], v[64:65], v[56:57], v[62:63]
	v_ldexp_f64 v[56:57], v[56:57], v4
	v_cndmask_b32_e32 v51, v57, v51, vcc_lo
	v_cndmask_b32_e32 v50, v56, v50, vcc_lo
	v_div_scale_f64 v[56:57], null, v[50:51], v[50:51], 1.0
	v_rcp_f64_e32 v[62:63], v[56:57]
	v_fma_f64 v[64:65], -v[56:57], v[62:63], 1.0
	v_fma_f64 v[62:63], v[62:63], v[64:65], v[62:63]
	v_fma_f64 v[64:65], -v[56:57], v[62:63], 1.0
	v_fma_f64 v[62:63], v[62:63], v[64:65], v[62:63]
	v_div_scale_f64 v[64:65], vcc_lo, 1.0, v[50:51], 1.0
	v_mul_f64 v[66:67], v[64:65], v[62:63]
	v_fma_f64 v[56:57], -v[56:57], v[66:67], v[64:65]
	v_div_fmas_f64 v[56:57], v[56:57], v[62:63], v[66:67]
	v_div_fixup_f64 v[50:51], v[56:57], v[50:51], 1.0
	v_mul_f64 v[54:55], v[54:55], v[50:51]
.LBB22_183:                             ;   in Loop: Header=BB22_177 Depth=3
	s_or_b32 exec_lo, exec_lo, s89
	v_mul_f64 v[52:53], v[52:53], v[50:51]
	v_fma_f64 v[56:57], v[38:39], v[54:55], -v[52:53]
.LBB22_184:                             ;   in Loop: Header=BB22_177 Depth=3
	s_andn2_saveexec_b32 s88, s88
; %bb.185:                              ;   in Loop: Header=BB22_177 Depth=3
	v_mov_b32_e32 v54, 0
	v_mov_b32_e32 v50, 0
	;; [unrolled: 1-line block ×4, first 2 shown]
; %bb.186:                              ;   in Loop: Header=BB22_177 Depth=3
	s_or_b32 exec_lo, exec_lo, s88
	v_mov_b32_e32 v38, v56
	v_mov_b32_e32 v39, v57
.LBB22_187:                             ;   in Loop: Header=BB22_177 Depth=3
	s_or_b32 exec_lo, exec_lo, s87
	s_cmp_eq_u32 s85, 0
	s_cbranch_scc1 .LBB22_176
; %bb.188:                              ;   in Loop: Header=BB22_177 Depth=3
	global_store_dwordx2 v[48:49], v[38:39], off offset:8
	s_branch .LBB22_176
.LBB22_189:                             ;   in Loop: Header=BB22_151 Depth=2
	ds_write2_b32 v9, v3, v35 offset0:5 offset1:7
	s_cbranch_execz .LBB22_162
	s_branch .LBB22_163
.LBB22_190:                             ;   in Loop: Header=BB22_151 Depth=2
	s_or_b32 exec_lo, exec_lo, s86
	ds_write_b64 v9, v[40:41]
.LBB22_191:                             ;   in Loop: Header=BB22_151 Depth=2
	s_or_b32 exec_lo, exec_lo, s71
	global_load_dwordx2 v[46:47], v[36:37], off
.LBB22_192:                             ;   in Loop: Header=BB22_151 Depth=2
	s_or_b32 exec_lo, exec_lo, s3
	s_waitcnt vmcnt(0)
	v_add_f64 v[3:4], v[46:47], -v[40:41]
                                        ; implicit-def: $vgpr35
                                        ; implicit-def: $vgpr46_vgpr47
	global_store_dwordx2 v[36:37], v[3:4], off
	global_store_dwordx2 v[5:6], v[38:39], off
                                        ; implicit-def: $vgpr38_vgpr39
                                        ; implicit-def: $vgpr36_vgpr37
.LBB22_193:                             ;   in Loop: Header=BB22_151 Depth=2
	s_andn2_saveexec_b32 s62, s70
	s_cbranch_execz .LBB22_230
; %bb.194:                              ;   in Loop: Header=BB22_151 Depth=2
	v_add_co_u32 v40, vcc_lo, s10, v38
	v_add_co_ci_u32_e64 v41, null, s72, v39, vcc_lo
                                        ; implicit-def: $vgpr50_vgpr51
	global_load_dwordx2 v[3:4], v[36:37], off offset:8
	global_load_dwordx2 v[48:49], v[40:41], off
	s_waitcnt vmcnt(1)
	v_add_f64 v[44:45], v[46:47], -v[3:4]
	s_waitcnt vmcnt(0)
	v_add_f64 v[42:43], v[48:49], v[48:49]
	v_cmp_ngt_f64_e64 s3, |v[44:45]|, |v[42:43]|
	s_and_saveexec_b32 s63, s3
	s_xor_b32 s3, exec_lo, s63
	s_cbranch_execz .LBB22_200
; %bb.195:                              ;   in Loop: Header=BB22_151 Depth=2
	v_cmp_nlt_f64_e64 s63, |v[44:45]|, |v[42:43]|
                                        ; implicit-def: $vgpr50_vgpr51
	s_and_saveexec_b32 s64, s63
	s_xor_b32 s63, exec_lo, s64
; %bb.196:                              ;   in Loop: Header=BB22_151 Depth=2
	v_mul_f64 v[50:51], |v[42:43]|, s[60:61]
; %bb.197:                              ;   in Loop: Header=BB22_151 Depth=2
	s_andn2_saveexec_b32 s63, s63
	s_cbranch_execz .LBB22_199
; %bb.198:                              ;   in Loop: Header=BB22_151 Depth=2
	v_and_b32_e32 v6, 0x7fffffff, v45
	v_mov_b32_e32 v5, v44
	v_and_b32_e32 v51, 0x7fffffff, v43
	v_mov_b32_e32 v50, v42
	v_div_scale_f64 v[52:53], null, v[50:51], v[50:51], v[5:6]
	v_div_scale_f64 v[5:6], vcc_lo, v[5:6], v[50:51], v[5:6]
	v_rcp_f64_e32 v[54:55], v[52:53]
	v_fma_f64 v[56:57], -v[52:53], v[54:55], 1.0
	v_fma_f64 v[54:55], v[54:55], v[56:57], v[54:55]
	v_fma_f64 v[56:57], -v[52:53], v[54:55], 1.0
	v_fma_f64 v[50:51], v[54:55], v[56:57], v[54:55]
	v_mul_f64 v[54:55], v[5:6], v[50:51]
	v_fma_f64 v[5:6], -v[52:53], v[54:55], v[5:6]
	v_div_fmas_f64 v[5:6], v[5:6], v[50:51], v[54:55]
	v_div_fixup_f64 v[5:6], v[5:6], |v[42:43]|, |v[44:45]|
	v_fma_f64 v[5:6], v[5:6], v[5:6], 1.0
	v_cmp_gt_f64_e32 vcc_lo, 0x10000000, v[5:6]
	v_cndmask_b32_e64 v10, 0, 0x100, vcc_lo
	v_ldexp_f64 v[5:6], v[5:6], v10
	v_cndmask_b32_e64 v10, 0, 0xffffff80, vcc_lo
	v_rsq_f64_e32 v[50:51], v[5:6]
	v_cmp_class_f64_e64 vcc_lo, v[5:6], 0x260
	v_mul_f64 v[52:53], v[5:6], v[50:51]
	v_mul_f64 v[50:51], v[50:51], 0.5
	v_fma_f64 v[54:55], -v[50:51], v[52:53], 0.5
	v_fma_f64 v[52:53], v[52:53], v[54:55], v[52:53]
	v_fma_f64 v[50:51], v[50:51], v[54:55], v[50:51]
	v_fma_f64 v[54:55], -v[52:53], v[52:53], v[5:6]
	v_fma_f64 v[52:53], v[54:55], v[50:51], v[52:53]
	v_fma_f64 v[54:55], -v[52:53], v[52:53], v[5:6]
	v_fma_f64 v[50:51], v[54:55], v[50:51], v[52:53]
	v_ldexp_f64 v[50:51], v[50:51], v10
	v_cndmask_b32_e32 v6, v51, v6, vcc_lo
	v_cndmask_b32_e32 v5, v50, v5, vcc_lo
	v_mul_f64 v[50:51], |v[42:43]|, v[5:6]
.LBB22_199:                             ;   in Loop: Header=BB22_151 Depth=2
	s_or_b32 exec_lo, exec_lo, s63
.LBB22_200:                             ;   in Loop: Header=BB22_151 Depth=2
	s_andn2_saveexec_b32 s3, s3
	s_cbranch_execz .LBB22_202
; %bb.201:                              ;   in Loop: Header=BB22_151 Depth=2
	v_and_b32_e32 v6, 0x7fffffff, v43
	v_mov_b32_e32 v5, v42
	v_and_b32_e32 v51, 0x7fffffff, v45
	v_mov_b32_e32 v50, v44
	v_div_scale_f64 v[52:53], null, v[50:51], v[50:51], v[5:6]
	v_div_scale_f64 v[5:6], vcc_lo, v[5:6], v[50:51], v[5:6]
	v_rcp_f64_e32 v[54:55], v[52:53]
	v_fma_f64 v[56:57], -v[52:53], v[54:55], 1.0
	v_fma_f64 v[54:55], v[54:55], v[56:57], v[54:55]
	v_fma_f64 v[56:57], -v[52:53], v[54:55], 1.0
	v_fma_f64 v[50:51], v[54:55], v[56:57], v[54:55]
	v_mul_f64 v[54:55], v[5:6], v[50:51]
	v_fma_f64 v[5:6], -v[52:53], v[54:55], v[5:6]
	v_div_fmas_f64 v[5:6], v[5:6], v[50:51], v[54:55]
	v_div_fixup_f64 v[5:6], v[5:6], |v[44:45]|, |v[42:43]|
	v_fma_f64 v[5:6], v[5:6], v[5:6], 1.0
	v_cmp_gt_f64_e32 vcc_lo, 0x10000000, v[5:6]
	v_cndmask_b32_e64 v10, 0, 0x100, vcc_lo
	v_ldexp_f64 v[5:6], v[5:6], v10
	v_cndmask_b32_e64 v10, 0, 0xffffff80, vcc_lo
	v_rsq_f64_e32 v[50:51], v[5:6]
	v_cmp_class_f64_e64 vcc_lo, v[5:6], 0x260
	v_mul_f64 v[52:53], v[5:6], v[50:51]
	v_mul_f64 v[50:51], v[50:51], 0.5
	v_fma_f64 v[54:55], -v[50:51], v[52:53], 0.5
	v_fma_f64 v[52:53], v[52:53], v[54:55], v[52:53]
	v_fma_f64 v[50:51], v[50:51], v[54:55], v[50:51]
	v_fma_f64 v[54:55], -v[52:53], v[52:53], v[5:6]
	v_fma_f64 v[52:53], v[54:55], v[50:51], v[52:53]
	v_fma_f64 v[54:55], -v[52:53], v[52:53], v[5:6]
	v_fma_f64 v[50:51], v[54:55], v[50:51], v[52:53]
	v_ldexp_f64 v[50:51], v[50:51], v10
	v_cndmask_b32_e32 v6, v51, v6, vcc_lo
	v_cndmask_b32_e32 v5, v50, v5, vcc_lo
	v_mul_f64 v[50:51], |v[44:45]|, v[5:6]
.LBB22_202:                             ;   in Loop: Header=BB22_151 Depth=2
	s_or_b32 exec_lo, exec_lo, s3
	v_cmp_gt_f64_e64 vcc_lo, |v[46:47]|, |v[3:4]|
	v_add_f64 v[54:55], v[46:47], v[3:4]
	s_mov_b32 s63, exec_lo
	v_cndmask_b32_e32 v53, v47, v4, vcc_lo
	v_cndmask_b32_e32 v52, v46, v3, vcc_lo
	;; [unrolled: 1-line block ×4, first 2 shown]
                                        ; implicit-def: $vgpr5_vgpr6
	v_cmpx_ngt_f64_e32 0, v[54:55]
	s_xor_b32 s63, exec_lo, s63
	s_cbranch_execz .LBB22_208
; %bb.203:                              ;   in Loop: Header=BB22_151 Depth=2
	s_mov_b32 s3, exec_lo
                                        ; implicit-def: $vgpr5_vgpr6
	v_cmpx_nlt_f64_e32 0, v[54:55]
	s_xor_b32 s3, exec_lo, s3
	s_cbranch_execz .LBB22_205
; %bb.204:                              ;   in Loop: Header=BB22_151 Depth=2
	v_mul_f64 v[3:4], v[50:51], 0.5
	v_mul_f64 v[5:6], v[50:51], -0.5
                                        ; implicit-def: $vgpr54_vgpr55
                                        ; implicit-def: $vgpr46_vgpr47
                                        ; implicit-def: $vgpr48_vgpr49
                                        ; implicit-def: $vgpr52_vgpr53
.LBB22_205:                             ;   in Loop: Header=BB22_151 Depth=2
	s_andn2_saveexec_b32 s64, s3
	s_cbranch_execz .LBB22_207
; %bb.206:                              ;   in Loop: Header=BB22_151 Depth=2
	v_add_f64 v[3:4], v[54:55], v[50:51]
	v_mul_f64 v[3:4], v[3:4], 0.5
	v_div_scale_f64 v[5:6], null, v[3:4], v[3:4], v[46:47]
	v_div_scale_f64 v[54:55], null, v[3:4], v[3:4], v[48:49]
	v_div_scale_f64 v[68:69], vcc_lo, v[46:47], v[3:4], v[46:47]
	v_rcp_f64_e32 v[56:57], v[5:6]
	v_rcp_f64_e32 v[62:63], v[54:55]
	v_fma_f64 v[64:65], -v[5:6], v[56:57], 1.0
	v_fma_f64 v[66:67], -v[54:55], v[62:63], 1.0
	v_fma_f64 v[56:57], v[56:57], v[64:65], v[56:57]
	v_fma_f64 v[62:63], v[62:63], v[66:67], v[62:63]
	v_fma_f64 v[64:65], -v[5:6], v[56:57], 1.0
	v_fma_f64 v[66:67], -v[54:55], v[62:63], 1.0
	v_fma_f64 v[56:57], v[56:57], v[64:65], v[56:57]
	v_div_scale_f64 v[64:65], s3, v[48:49], v[3:4], v[48:49]
	v_fma_f64 v[62:63], v[62:63], v[66:67], v[62:63]
	v_mul_f64 v[66:67], v[68:69], v[56:57]
	v_mul_f64 v[70:71], v[64:65], v[62:63]
	v_fma_f64 v[5:6], -v[5:6], v[66:67], v[68:69]
	v_fma_f64 v[54:55], -v[54:55], v[70:71], v[64:65]
	v_div_fmas_f64 v[5:6], v[5:6], v[56:57], v[66:67]
	s_mov_b32 vcc_lo, s3
	v_div_fmas_f64 v[54:55], v[54:55], v[62:63], v[70:71]
	v_div_fixup_f64 v[5:6], v[5:6], v[3:4], v[46:47]
	v_div_fixup_f64 v[54:55], v[54:55], v[3:4], v[48:49]
	v_mul_f64 v[46:47], v[48:49], v[54:55]
	v_fma_f64 v[5:6], v[52:53], v[5:6], -v[46:47]
.LBB22_207:                             ;   in Loop: Header=BB22_151 Depth=2
	s_or_b32 exec_lo, exec_lo, s64
                                        ; implicit-def: $vgpr54_vgpr55
                                        ; implicit-def: $vgpr46_vgpr47
                                        ; implicit-def: $vgpr48_vgpr49
                                        ; implicit-def: $vgpr52_vgpr53
.LBB22_208:                             ;   in Loop: Header=BB22_151 Depth=2
	s_or_saveexec_b32 s63, s63
	v_mov_b32_e32 v10, 1
	s_xor_b32 exec_lo, exec_lo, s63
	s_cbranch_execz .LBB22_210
; %bb.209:                              ;   in Loop: Header=BB22_151 Depth=2
	v_add_f64 v[3:4], v[54:55], -v[50:51]
	v_mov_b32_e32 v10, -1
	v_mul_f64 v[3:4], v[3:4], 0.5
	v_div_scale_f64 v[5:6], null, v[3:4], v[3:4], v[46:47]
	v_div_scale_f64 v[54:55], null, v[3:4], v[3:4], v[48:49]
	v_div_scale_f64 v[68:69], vcc_lo, v[46:47], v[3:4], v[46:47]
	v_rcp_f64_e32 v[56:57], v[5:6]
	v_rcp_f64_e32 v[62:63], v[54:55]
	v_fma_f64 v[64:65], -v[5:6], v[56:57], 1.0
	v_fma_f64 v[66:67], -v[54:55], v[62:63], 1.0
	v_fma_f64 v[56:57], v[56:57], v[64:65], v[56:57]
	v_fma_f64 v[62:63], v[62:63], v[66:67], v[62:63]
	v_fma_f64 v[64:65], -v[5:6], v[56:57], 1.0
	v_fma_f64 v[66:67], -v[54:55], v[62:63], 1.0
	v_fma_f64 v[56:57], v[56:57], v[64:65], v[56:57]
	v_div_scale_f64 v[64:65], s3, v[48:49], v[3:4], v[48:49]
	v_fma_f64 v[62:63], v[62:63], v[66:67], v[62:63]
	v_mul_f64 v[66:67], v[68:69], v[56:57]
	v_mul_f64 v[70:71], v[64:65], v[62:63]
	v_fma_f64 v[5:6], -v[5:6], v[66:67], v[68:69]
	v_fma_f64 v[54:55], -v[54:55], v[70:71], v[64:65]
	v_div_fmas_f64 v[5:6], v[5:6], v[56:57], v[66:67]
	s_mov_b32 vcc_lo, s3
	v_div_fmas_f64 v[54:55], v[54:55], v[62:63], v[70:71]
	v_div_fixup_f64 v[5:6], v[5:6], v[3:4], v[46:47]
	v_div_fixup_f64 v[54:55], v[54:55], v[3:4], v[48:49]
	v_mul_f64 v[46:47], v[48:49], v[54:55]
	v_fma_f64 v[5:6], v[52:53], v[5:6], -v[46:47]
.LBB22_210:                             ;   in Loop: Header=BB22_151 Depth=2
	s_or_b32 exec_lo, exec_lo, s63
	s_mov_b32 s3, exec_lo
                                        ; implicit-def: $vgpr46_vgpr47
	v_cmpx_le_f64_e32 0, v[44:45]
	s_xor_b32 s3, exec_lo, s3
; %bb.211:                              ;   in Loop: Header=BB22_151 Depth=2
	v_add_f64 v[46:47], v[44:45], v[50:51]
                                        ; implicit-def: $vgpr44_vgpr45
                                        ; implicit-def: $vgpr50_vgpr51
; %bb.212:                              ;   in Loop: Header=BB22_151 Depth=2
	s_or_saveexec_b32 s3, s3
	v_mov_b32_e32 v52, 1
	s_xor_b32 exec_lo, exec_lo, s3
; %bb.213:                              ;   in Loop: Header=BB22_151 Depth=2
	v_add_f64 v[46:47], v[44:45], -v[50:51]
	v_mov_b32_e32 v52, -1
; %bb.214:                              ;   in Loop: Header=BB22_151 Depth=2
	s_or_b32 exec_lo, exec_lo, s3
	v_cmp_ngt_f64_e64 s3, |v[46:47]|, |v[42:43]|
                                        ; implicit-def: $vgpr48_vgpr49
                                        ; implicit-def: $vgpr44_vgpr45
	s_and_saveexec_b32 s63, s3
	s_xor_b32 s3, exec_lo, s63
	s_cbranch_execz .LBB22_218
; %bb.215:                              ;   in Loop: Header=BB22_151 Depth=2
	v_mov_b32_e32 v44, 0
	v_mov_b32_e32 v48, 0
	;; [unrolled: 1-line block ×4, first 2 shown]
	s_mov_b32 s63, exec_lo
	v_cmpx_neq_f64_e32 0, v[42:43]
	s_cbranch_execz .LBB22_217
; %bb.216:                              ;   in Loop: Header=BB22_151 Depth=2
	v_div_scale_f64 v[44:45], null, v[42:43], v[42:43], -v[46:47]
	v_div_scale_f64 v[53:54], vcc_lo, -v[46:47], v[42:43], -v[46:47]
	v_rcp_f64_e32 v[48:49], v[44:45]
	v_fma_f64 v[50:51], -v[44:45], v[48:49], 1.0
	v_fma_f64 v[48:49], v[48:49], v[50:51], v[48:49]
	v_fma_f64 v[50:51], -v[44:45], v[48:49], 1.0
	v_fma_f64 v[48:49], v[48:49], v[50:51], v[48:49]
	v_mul_f64 v[50:51], v[53:54], v[48:49]
	v_fma_f64 v[44:45], -v[44:45], v[50:51], v[53:54]
	v_div_fmas_f64 v[44:45], v[44:45], v[48:49], v[50:51]
	v_div_fixup_f64 v[42:43], v[44:45], v[42:43], -v[46:47]
	v_fma_f64 v[44:45], v[42:43], v[42:43], 1.0
	v_cmp_gt_f64_e32 vcc_lo, 0x10000000, v[44:45]
	v_cndmask_b32_e64 v46, 0, 0x100, vcc_lo
	v_ldexp_f64 v[44:45], v[44:45], v46
	v_rsq_f64_e32 v[46:47], v[44:45]
	v_mul_f64 v[48:49], v[44:45], v[46:47]
	v_mul_f64 v[46:47], v[46:47], 0.5
	v_fma_f64 v[50:51], -v[46:47], v[48:49], 0.5
	v_fma_f64 v[48:49], v[48:49], v[50:51], v[48:49]
	v_fma_f64 v[46:47], v[46:47], v[50:51], v[46:47]
	v_fma_f64 v[50:51], -v[48:49], v[48:49], v[44:45]
	v_fma_f64 v[48:49], v[50:51], v[46:47], v[48:49]
	v_fma_f64 v[50:51], -v[48:49], v[48:49], v[44:45]
	v_fma_f64 v[46:47], v[50:51], v[46:47], v[48:49]
	v_cndmask_b32_e64 v48, 0, 0xffffff80, vcc_lo
	v_cmp_class_f64_e64 vcc_lo, v[44:45], 0x260
	v_ldexp_f64 v[46:47], v[46:47], v48
	v_cndmask_b32_e32 v45, v47, v45, vcc_lo
	v_cndmask_b32_e32 v44, v46, v44, vcc_lo
	v_div_scale_f64 v[46:47], null, v[44:45], v[44:45], 1.0
	v_rcp_f64_e32 v[48:49], v[46:47]
	v_fma_f64 v[50:51], -v[46:47], v[48:49], 1.0
	v_fma_f64 v[48:49], v[48:49], v[50:51], v[48:49]
	v_fma_f64 v[50:51], -v[46:47], v[48:49], 1.0
	v_fma_f64 v[48:49], v[48:49], v[50:51], v[48:49]
	v_div_scale_f64 v[50:51], vcc_lo, 1.0, v[44:45], 1.0
	v_mul_f64 v[53:54], v[50:51], v[48:49]
	v_fma_f64 v[46:47], -v[46:47], v[53:54], v[50:51]
	v_div_fmas_f64 v[46:47], v[46:47], v[48:49], v[53:54]
	v_div_fixup_f64 v[48:49], v[46:47], v[44:45], 1.0
	v_mul_f64 v[44:45], v[42:43], v[48:49]
.LBB22_217:                             ;   in Loop: Header=BB22_151 Depth=2
	s_or_b32 exec_lo, exec_lo, s63
                                        ; implicit-def: $vgpr46_vgpr47
                                        ; implicit-def: $vgpr42_vgpr43
.LBB22_218:                             ;   in Loop: Header=BB22_151 Depth=2
	s_andn2_saveexec_b32 s3, s3
	s_cbranch_execz .LBB22_220
; %bb.219:                              ;   in Loop: Header=BB22_151 Depth=2
	v_div_scale_f64 v[44:45], null, v[46:47], v[46:47], -v[42:43]
	v_div_scale_f64 v[53:54], vcc_lo, -v[42:43], v[46:47], -v[42:43]
	v_rcp_f64_e32 v[48:49], v[44:45]
	v_fma_f64 v[50:51], -v[44:45], v[48:49], 1.0
	v_fma_f64 v[48:49], v[48:49], v[50:51], v[48:49]
	v_fma_f64 v[50:51], -v[44:45], v[48:49], 1.0
	v_fma_f64 v[48:49], v[48:49], v[50:51], v[48:49]
	v_mul_f64 v[50:51], v[53:54], v[48:49]
	v_fma_f64 v[44:45], -v[44:45], v[50:51], v[53:54]
	v_div_fmas_f64 v[44:45], v[44:45], v[48:49], v[50:51]
	v_div_fixup_f64 v[42:43], v[44:45], v[46:47], -v[42:43]
	v_fma_f64 v[44:45], v[42:43], v[42:43], 1.0
	v_cmp_gt_f64_e32 vcc_lo, 0x10000000, v[44:45]
	v_cndmask_b32_e64 v46, 0, 0x100, vcc_lo
	v_ldexp_f64 v[44:45], v[44:45], v46
	v_rsq_f64_e32 v[46:47], v[44:45]
	v_mul_f64 v[48:49], v[44:45], v[46:47]
	v_mul_f64 v[46:47], v[46:47], 0.5
	v_fma_f64 v[50:51], -v[46:47], v[48:49], 0.5
	v_fma_f64 v[48:49], v[48:49], v[50:51], v[48:49]
	v_fma_f64 v[46:47], v[46:47], v[50:51], v[46:47]
	v_fma_f64 v[50:51], -v[48:49], v[48:49], v[44:45]
	v_fma_f64 v[48:49], v[50:51], v[46:47], v[48:49]
	v_fma_f64 v[50:51], -v[48:49], v[48:49], v[44:45]
	v_fma_f64 v[46:47], v[50:51], v[46:47], v[48:49]
	v_cndmask_b32_e64 v48, 0, 0xffffff80, vcc_lo
	v_cmp_class_f64_e64 vcc_lo, v[44:45], 0x260
	v_ldexp_f64 v[46:47], v[46:47], v48
	v_cndmask_b32_e32 v45, v47, v45, vcc_lo
	v_cndmask_b32_e32 v44, v46, v44, vcc_lo
	v_div_scale_f64 v[46:47], null, v[44:45], v[44:45], 1.0
	v_rcp_f64_e32 v[48:49], v[46:47]
	v_fma_f64 v[50:51], -v[46:47], v[48:49], 1.0
	v_fma_f64 v[48:49], v[48:49], v[50:51], v[48:49]
	v_fma_f64 v[50:51], -v[46:47], v[48:49], 1.0
	v_fma_f64 v[48:49], v[48:49], v[50:51], v[48:49]
	v_div_scale_f64 v[50:51], vcc_lo, 1.0, v[44:45], 1.0
	v_mul_f64 v[53:54], v[50:51], v[48:49]
	v_fma_f64 v[46:47], -v[46:47], v[53:54], v[50:51]
	v_div_fmas_f64 v[46:47], v[46:47], v[48:49], v[53:54]
	v_div_fixup_f64 v[44:45], v[46:47], v[44:45], 1.0
	v_mul_f64 v[48:49], v[42:43], v[44:45]
.LBB22_220:                             ;   in Loop: Header=BB22_151 Depth=2
	s_or_b32 exec_lo, exec_lo, s3
	v_cmp_eq_u32_e32 vcc_lo, v10, v52
	v_xor_b32_e32 v10, 0x80000000, v45
	v_add_co_u32 v38, s3, s75, v38
	v_add_co_ci_u32_e64 v39, null, s76, v39, s3
	v_cndmask_b32_e32 v43, v45, v49, vcc_lo
	v_cndmask_b32_e32 v42, v44, v48, vcc_lo
	;; [unrolled: 1-line block ×4, first 2 shown]
	v_add_co_u32 v46, vcc_lo, v38, s44
	v_add_nc_u32_e32 v35, 2, v35
	v_add_co_ci_u32_e64 v47, null, s45, v39, vcc_lo
	v_mov_b32_e32 v10, v9
	global_store_dwordx2 v[38:39], v[44:45], off
	global_store_dwordx2 v[46:47], v[42:43], off offset:-8
	global_store_dwordx4 v[36:37], v[3:6], off
	global_store_dwordx2 v[40:41], v[9:10], off
	ds_write_b32 v9, v35 offset:16
	s_or_b32 exec_lo, exec_lo, s62
                                        ; implicit-def: $vgpr4
.LBB22_221:                             ;   in Loop: Header=BB22_151 Depth=2
	s_andn2_saveexec_b32 s3, s58
.LBB22_222:                             ;   in Loop: Header=BB22_151 Depth=2
	ds_write_b32 v9, v4 offset:16
.LBB22_223:                             ;   in Loop: Header=BB22_151 Depth=2
	s_or_b32 exec_lo, exec_lo, s3
.LBB22_224:                             ;   in Loop: Header=BB22_151 Depth=2
	s_or_b32 exec_lo, exec_lo, s39
	s_waitcnt lgkmcnt(0)
	s_waitcnt_vscnt null, 0x0
	s_barrier
	buffer_gl0_inv
	ds_read_b64 v[3:4], v9 offset:16
	s_waitcnt lgkmcnt(0)
	v_readfirstlane_b32 s3, v4
	v_cmp_eq_u32_e32 vcc_lo, s3, v3
	v_mov_b32_e32 v35, s3
	s_cbranch_vccnz .LBB22_150
; %bb.225:                              ;   in Loop: Header=BB22_151 Depth=2
	s_and_saveexec_b32 s39, s1
	s_cbranch_execz .LBB22_149
; %bb.226:                              ;   in Loop: Header=BB22_151 Depth=2
	ds_read_b32 v3, v9 offset:28
	v_mov_b32_e32 v39, v7
	s_waitcnt lgkmcnt(0)
	v_readfirstlane_b32 s58, v3
	v_ashrrev_i32_e32 v4, 31, v3
	s_mul_i32 s62, s58, s11
	v_lshlrev_b64 v[3:4], 3, v[3:4]
	s_ashr_i32 s63, s62, 31
	s_lshl_b64 s[68:69], s[62:63], 4
	s_add_u32 s62, s73, s68
	s_addc_u32 s63, s74, s69
	s_sub_i32 s64, s3, s58
	s_mul_hi_i32 s67, s64, s42
	s_mul_i32 s66, s64, s42
	s_lshl_b64 s[66:67], s[66:67], 4
	s_add_u32 s65, s62, s66
	s_addc_u32 s66, s63, s67
	s_cmp_gt_i32 s64, 0
	s_cselect_b32 s67, -1, 0
	s_add_i32 s58, s64, -1
	s_lshl_b64 s[70:71], s[58:59], 3
	s_mul_i32 s3, s55, s58
	s_mul_hi_u32 s85, s54, s58
	s_mul_i32 s58, s54, s58
	v_add_co_u32 v3, vcc_lo, v3, s70
	s_add_i32 s85, s85, s3
	s_add_u32 s3, s58, s68
	v_add_co_ci_u32_e64 v4, null, s71, v4, vcc_lo
	s_addc_u32 s58, s85, s69
	v_add_co_u32 v35, vcc_lo, v8, s3
	v_add_co_ci_u32_e64 v36, null, s58, v58, vcc_lo
	v_add_co_u32 v37, vcc_lo, s75, v3
	v_add_co_ci_u32_e64 v38, null, s76, v4, vcc_lo
	s_mov_b32 s58, 0
	s_branch .LBB22_228
.LBB22_227:                             ;   in Loop: Header=BB22_228 Depth=3
	v_add_nc_u32_e32 v39, s34, v39
	v_add_co_u32 v35, s3, v35, s56
	v_add_co_ci_u32_e64 v36, null, s57, v36, s3
	v_cmp_le_i32_e32 vcc_lo, s28, v39
	s_waitcnt vmcnt(0)
	global_store_dwordx4 v[40:41], v[3:6], off
	s_or_b32 s58, vcc_lo, s58
	s_andn2_b32 exec_lo, exec_lo, s58
	s_cbranch_execz .LBB22_149
.LBB22_228:                             ;   Parent Loop BB22_7 Depth=1
                                        ;     Parent Loop BB22_151 Depth=2
                                        ; =>    This Loop Header: Depth=3
                                        ;         Child Loop BB22_229 Depth 4
	v_ashrrev_i32_e32 v40, 31, v39
	v_mov_b32_e32 v43, v36
	v_mov_b32_e32 v45, v38
	;; [unrolled: 1-line block ×4, first 2 shown]
	v_lshlrev_b64 v[40:41], 4, v[39:40]
	s_mov_b32 s3, s64
	v_add_co_u32 v3, vcc_lo, s65, v40
	v_add_co_ci_u32_e64 v4, null, s66, v41, vcc_lo
	v_add_co_u32 v40, vcc_lo, s62, v40
	v_add_co_ci_u32_e64 v41, null, s63, v41, vcc_lo
	global_load_dwordx4 v[3:6], v[3:4], off
	s_andn2_b32 vcc_lo, exec_lo, s67
	s_cbranch_vccnz .LBB22_227
.LBB22_229:                             ;   Parent Loop BB22_7 Depth=1
                                        ;     Parent Loop BB22_151 Depth=2
                                        ;       Parent Loop BB22_228 Depth=3
                                        ; =>      This Inner Loop Header: Depth=4
	v_add_co_u32 v50, vcc_lo, v44, s29
	v_add_co_ci_u32_e64 v51, null, s81, v45, vcc_lo
	s_mul_i32 s69, s3, s43
	s_mul_hi_u32 s71, s3, s42
	global_load_dwordx4 v[46:49], v[42:43], off offset:-8
	s_clause 0x1
	global_load_dwordx2 v[50:51], v[50:51], off
	global_load_dwordx2 v[52:53], v[44:45], off
	s_mul_i32 s68, s3, s42
	s_add_i32 s69, s71, s69
	v_add_co_u32 v44, vcc_lo, v44, -8
	s_lshl_b64 s[68:69], s[68:69], 4
	s_add_i32 s70, s3, -1
	v_add_co_ci_u32_e64 v45, null, -1, v45, vcc_lo
	v_add_co_u32 v42, vcc_lo, v42, s35
	v_add_co_ci_u32_e64 v43, null, s82, v43, vcc_lo
	s_cmp_eq_u32 s70, 0
	s_waitcnt vmcnt(1)
	v_mul_f64 v[56:57], v[50:51], v[48:49]
	s_waitcnt vmcnt(0)
	v_mul_f64 v[54:55], v[52:53], v[46:47]
	v_mul_f64 v[46:47], v[50:51], v[46:47]
	;; [unrolled: 1-line block ×3, first 2 shown]
	v_fma_f64 v[48:49], v[5:6], v[52:53], -v[56:57]
	v_fma_f64 v[46:47], v[3:4], v[52:53], -v[46:47]
	v_fma_f64 v[3:4], v[3:4], v[50:51], v[54:55]
	v_fma_f64 v[5:6], v[5:6], v[50:51], v[62:63]
	v_add_co_u32 v50, s3, v40, s68
	v_add_co_ci_u32_e64 v51, null, s69, v41, s3
	s_mov_b32 s3, s70
	global_store_dwordx4 v[50:51], v[46:49], off
	s_cbranch_scc0 .LBB22_229
	s_branch .LBB22_227
.LBB22_230:                             ;   in Loop: Header=BB22_151 Depth=2
	s_or_b32 exec_lo, exec_lo, s62
                                        ; implicit-def: $vgpr4
	s_andn2_saveexec_b32 s3, s58
	s_cbranch_execnz .LBB22_222
	s_branch .LBB22_223
.LBB22_231:
	s_mov_b32 s10, exec_lo
	v_cmpx_gt_i32_e64 s38, v7
	s_cbranch_execz .LBB22_237
; %bb.232:
	v_ashrrev_i32_e32 v8, 31, v7
	s_lshl_b64 s[2:3], s[30:31], 2
	v_mov_b32_e32 v5, 0
	s_add_u32 s2, s14, s2
	s_addc_u32 s3, s15, s3
	v_lshlrev_b64 v[3:4], 3, v[7:8]
	s_lshl_b64 s[6:7], s[40:41], 3
	s_mov_b32 s14, 0
	s_add_u32 s1, s20, s6
	s_addc_u32 s6, s21, s7
	s_ashr_i32 s35, s34, 31
	v_add_co_u32 v3, vcc_lo, s1, v3
	v_add_co_ci_u32_e64 v4, null, s6, v4, vcc_lo
	s_lshl_b64 s[6:7], s[34:35], 3
	s_inst_prefetch 0x1
	s_branch .LBB22_234
	.p2align	6
.LBB22_233:                             ;   in Loop: Header=BB22_234 Depth=1
	s_or_b32 exec_lo, exec_lo, s1
	v_add_nc_u32_e32 v7, s34, v7
	v_add_co_u32 v3, s1, v3, s6
	v_add_co_ci_u32_e64 v4, null, s7, v4, s1
	v_cmp_le_i32_e32 vcc_lo, s38, v7
	s_or_b32 s14, vcc_lo, s14
	s_andn2_b32 exec_lo, exec_lo, s14
	s_cbranch_execz .LBB22_237
.LBB22_234:                             ; =>This Inner Loop Header: Depth=1
	global_load_dwordx2 v[8:9], v[3:4], off
	s_mov_b32 s1, exec_lo
	s_waitcnt vmcnt(0)
	v_cmpx_neq_f64_e32 0, v[8:9]
	s_cbranch_execz .LBB22_233
; %bb.235:                              ;   in Loop: Header=BB22_234 Depth=1
	s_mov_b32 s15, exec_lo
	v_mbcnt_lo_u32_b32 v6, s15, 0
	v_cmp_eq_u32_e32 vcc_lo, 0, v6
	s_and_b32 s20, exec_lo, vcc_lo
	s_mov_b32 exec_lo, s20
	s_cbranch_execz .LBB22_233
; %bb.236:                              ;   in Loop: Header=BB22_234 Depth=1
	s_bcnt1_i32_b32 s15, s15
	v_mov_b32_e32 v6, s15
	global_atomic_add v5, v6, s[2:3]
	s_branch .LBB22_233
.LBB22_237:
	s_inst_prefetch 0x2
	s_or_b32 exec_lo, exec_lo, s10
	s_cmp_lt_i32 s28, 2
	s_cbranch_scc1 .LBB22_250
; %bb.238:
	s_load_dwordx2 s[2:3], s[4:5], 0x4
	v_mov_b32_e32 v7, 0
	s_waitcnt lgkmcnt(0)
	s_lshr_b32 s1, s2, 16
	v_mul_u32_u24_e32 v1, s3, v1
	s_mul_i32 s1, s1, s3
	v_mul_lo_u32 v0, s1, v0
	s_add_u32 s1, s16, s22
	s_addc_u32 s3, s17, s23
	s_add_u32 s2, s1, 8
	s_addc_u32 s3, s3, 0
	s_lshl_b64 s[4:5], s[12:13], 4
	s_lshl_b64 s[6:7], s[36:37], 4
	s_add_u32 s1, s4, s6
	v_add3_u32 v0, v0, v1, v2
	s_addc_u32 s4, s5, s7
	s_add_u32 s1, s8, s1
	s_addc_u32 s10, s9, s4
	s_mov_b32 s4, 1
	v_lshl_add_u32 v6, v0, 4, 48
	s_branch .LBB22_240
.LBB22_239:                             ;   in Loop: Header=BB22_240 Depth=1
	s_add_i32 s4, s4, 1
	s_add_u32 s2, s2, 8
	s_addc_u32 s3, s3, 0
	s_cmp_lg_u32 s4, s28
	s_waitcnt lgkmcnt(0)
	s_waitcnt_vscnt null, 0x0
	s_barrier
	buffer_gl0_inv
	s_cbranch_scc0 .LBB22_250
.LBB22_240:                             ; =>This Loop Header: Depth=1
                                        ;     Child Loop BB22_243 Depth 2
                                        ;     Child Loop BB22_249 Depth 2
	s_and_saveexec_b32 s14, s0
	s_cbranch_execz .LBB22_247
; %bb.241:                              ;   in Loop: Header=BB22_240 Depth=1
	s_ashr_i32 s5, s4, 31
	s_mov_b64 s[12:13], s[2:3]
	s_lshl_b64 s[6:7], s[4:5], 3
	s_add_i32 s5, s4, -1
	s_add_u32 s6, s18, s6
	s_addc_u32 s7, s19, s7
	v_mov_b32_e32 v4, s5
	global_load_dwordx2 v[0:1], v7, s[6:7] offset:-8
	v_mov_b32_e32 v5, s5
	s_mov_b32 s8, s5
	s_mov_b32 s9, s4
	s_waitcnt vmcnt(0)
	v_mov_b32_e32 v3, v1
	v_mov_b32_e32 v2, v0
	ds_write2_b64 v7, v[0:1], v[4:5] offset1:2
	s_branch .LBB22_243
	.p2align	6
.LBB22_242:                             ;   in Loop: Header=BB22_243 Depth=2
	s_add_i32 s9, s9, 1
	s_add_u32 s12, s12, 8
	s_addc_u32 s13, s13, 0
	s_cmp_eq_u32 s28, s9
	s_cbranch_scc1 .LBB22_245
.LBB22_243:                             ;   Parent Loop BB22_240 Depth=1
                                        ; =>  This Inner Loop Header: Depth=2
	global_load_dwordx2 v[4:5], v7, s[12:13]
	s_waitcnt vmcnt(0)
	v_cmp_nlt_f64_e32 vcc_lo, v[4:5], v[2:3]
	s_cbranch_vccnz .LBB22_242
; %bb.244:                              ;   in Loop: Header=BB22_243 Depth=2
	v_mov_b32_e32 v2, v4
	v_mov_b32_e32 v8, s9
	;; [unrolled: 1-line block ×3, first 2 shown]
	s_mov_b32 s8, s9
	ds_write_b32 v7, v8 offset:20
	ds_write_b64 v7, v[4:5]
	s_branch .LBB22_242
.LBB22_245:                             ;   in Loop: Header=BB22_240 Depth=1
	s_cmp_lg_u32 s8, s5
	s_cbranch_scc0 .LBB22_247
; %bb.246:                              ;   in Loop: Header=BB22_240 Depth=1
	s_ashr_i32 s9, s8, 31
	s_lshl_b64 s[8:9], s[8:9], 3
	s_add_u32 s8, s18, s8
	s_addc_u32 s9, s19, s9
	global_store_dwordx2 v7, v[0:1], s[8:9]
	global_store_dwordx2 v7, v[2:3], s[6:7] offset:-8
.LBB22_247:                             ;   in Loop: Header=BB22_240 Depth=1
	s_or_b32 exec_lo, exec_lo, s14
	s_waitcnt lgkmcnt(0)
	s_waitcnt_vscnt null, 0x0
	s_barrier
	buffer_gl0_inv
	ds_read_b64 v[0:1], v7 offset:16
	s_waitcnt lgkmcnt(0)
	v_readfirstlane_b32 s5, v0
	v_readfirstlane_b32 s6, v1
	s_cmp_eq_u32 s6, s5
	s_cbranch_scc1 .LBB22_239
; %bb.248:                              ;   in Loop: Header=BB22_240 Depth=1
	s_mul_i32 s6, s6, s11
	s_mul_i32 s8, s5, s11
	s_ashr_i32 s7, s6, 31
	s_mov_b32 s5, s28
	s_lshl_b64 s[6:7], s[6:7], 4
	s_add_u32 s6, s1, s6
	s_addc_u32 s7, s10, s7
	s_ashr_i32 s9, s8, 31
	s_lshl_b64 s[8:9], s[8:9], 4
	s_add_u32 s8, s1, s8
	s_addc_u32 s9, s10, s9
	.p2align	6
.LBB22_249:                             ;   Parent Loop BB22_240 Depth=1
                                        ; =>  This Inner Loop Header: Depth=2
	s_clause 0x1
	global_load_dwordx4 v[0:3], v7, s[6:7]
	global_load_dwordx4 v[8:11], v7, s[8:9]
	s_add_i32 s5, s5, -1
	s_waitcnt vmcnt(1)
	global_store_dwordx4 v7, v[0:3], s[8:9]
	s_waitcnt vmcnt(0)
	global_store_dwordx4 v7, v[8:11], s[6:7]
	s_add_u32 s6, s6, 16
	s_addc_u32 s7, s7, 0
	s_add_u32 s8, s8, 16
	s_addc_u32 s9, s9, 0
	s_cmp_lg_u32 s5, 0
	ds_write2_b64 v6, v[8:9], v[10:11] offset1:1
	s_cbranch_scc1 .LBB22_249
	s_branch .LBB22_239
.LBB22_250:
	s_endpgm
	.section	.rodata,"a",@progbits
	.p2align	6, 0x0
	.amdhsa_kernel _ZN9rocsolver6v33100L12steqr_kernelI19rocblas_complex_numIdEdPS3_EEviPT0_lS6_lT1_iilPiS6_iS5_S5_S5_
		.amdhsa_group_segment_fixed_size 16432
		.amdhsa_private_segment_fixed_size 0
		.amdhsa_kernarg_size 368
		.amdhsa_user_sgpr_count 8
		.amdhsa_user_sgpr_private_segment_buffer 1
		.amdhsa_user_sgpr_dispatch_ptr 1
		.amdhsa_user_sgpr_queue_ptr 0
		.amdhsa_user_sgpr_kernarg_segment_ptr 1
		.amdhsa_user_sgpr_dispatch_id 0
		.amdhsa_user_sgpr_flat_scratch_init 0
		.amdhsa_user_sgpr_private_segment_size 0
		.amdhsa_wavefront_size32 1
		.amdhsa_uses_dynamic_stack 0
		.amdhsa_system_sgpr_private_segment_wavefront_offset 0
		.amdhsa_system_sgpr_workgroup_id_x 1
		.amdhsa_system_sgpr_workgroup_id_y 1
		.amdhsa_system_sgpr_workgroup_id_z 0
		.amdhsa_system_sgpr_workgroup_info 0
		.amdhsa_system_vgpr_workitem_id 2
		.amdhsa_next_free_vgpr 72
		.amdhsa_next_free_sgpr 91
		.amdhsa_reserve_vcc 1
		.amdhsa_reserve_flat_scratch 0
		.amdhsa_float_round_mode_32 0
		.amdhsa_float_round_mode_16_64 0
		.amdhsa_float_denorm_mode_32 3
		.amdhsa_float_denorm_mode_16_64 3
		.amdhsa_dx10_clamp 1
		.amdhsa_ieee_mode 1
		.amdhsa_fp16_overflow 0
		.amdhsa_workgroup_processor_mode 1
		.amdhsa_memory_ordered 1
		.amdhsa_forward_progress 1
		.amdhsa_shared_vgpr_count 0
		.amdhsa_exception_fp_ieee_invalid_op 0
		.amdhsa_exception_fp_denorm_src 0
		.amdhsa_exception_fp_ieee_div_zero 0
		.amdhsa_exception_fp_ieee_overflow 0
		.amdhsa_exception_fp_ieee_underflow 0
		.amdhsa_exception_fp_ieee_inexact 0
		.amdhsa_exception_int_div_zero 0
	.end_amdhsa_kernel
	.section	.text._ZN9rocsolver6v33100L12steqr_kernelI19rocblas_complex_numIdEdPS3_EEviPT0_lS6_lT1_iilPiS6_iS5_S5_S5_,"axG",@progbits,_ZN9rocsolver6v33100L12steqr_kernelI19rocblas_complex_numIdEdPS3_EEviPT0_lS6_lT1_iilPiS6_iS5_S5_S5_,comdat
.Lfunc_end22:
	.size	_ZN9rocsolver6v33100L12steqr_kernelI19rocblas_complex_numIdEdPS3_EEviPT0_lS6_lT1_iilPiS6_iS5_S5_S5_, .Lfunc_end22-_ZN9rocsolver6v33100L12steqr_kernelI19rocblas_complex_numIdEdPS3_EEviPT0_lS6_lT1_iilPiS6_iS5_S5_S5_
                                        ; -- End function
	.set _ZN9rocsolver6v33100L12steqr_kernelI19rocblas_complex_numIdEdPS3_EEviPT0_lS6_lT1_iilPiS6_iS5_S5_S5_.num_vgpr, 72
	.set _ZN9rocsolver6v33100L12steqr_kernelI19rocblas_complex_numIdEdPS3_EEviPT0_lS6_lT1_iilPiS6_iS5_S5_S5_.num_agpr, 0
	.set _ZN9rocsolver6v33100L12steqr_kernelI19rocblas_complex_numIdEdPS3_EEviPT0_lS6_lT1_iilPiS6_iS5_S5_S5_.numbered_sgpr, 91
	.set _ZN9rocsolver6v33100L12steqr_kernelI19rocblas_complex_numIdEdPS3_EEviPT0_lS6_lT1_iilPiS6_iS5_S5_S5_.num_named_barrier, 0
	.set _ZN9rocsolver6v33100L12steqr_kernelI19rocblas_complex_numIdEdPS3_EEviPT0_lS6_lT1_iilPiS6_iS5_S5_S5_.private_seg_size, 0
	.set _ZN9rocsolver6v33100L12steqr_kernelI19rocblas_complex_numIdEdPS3_EEviPT0_lS6_lT1_iilPiS6_iS5_S5_S5_.uses_vcc, 1
	.set _ZN9rocsolver6v33100L12steqr_kernelI19rocblas_complex_numIdEdPS3_EEviPT0_lS6_lT1_iilPiS6_iS5_S5_S5_.uses_flat_scratch, 0
	.set _ZN9rocsolver6v33100L12steqr_kernelI19rocblas_complex_numIdEdPS3_EEviPT0_lS6_lT1_iilPiS6_iS5_S5_S5_.has_dyn_sized_stack, 0
	.set _ZN9rocsolver6v33100L12steqr_kernelI19rocblas_complex_numIdEdPS3_EEviPT0_lS6_lT1_iilPiS6_iS5_S5_S5_.has_recursion, 0
	.set _ZN9rocsolver6v33100L12steqr_kernelI19rocblas_complex_numIdEdPS3_EEviPT0_lS6_lT1_iilPiS6_iS5_S5_S5_.has_indirect_call, 0
	.section	.AMDGPU.csdata,"",@progbits
; Kernel info:
; codeLenInByte = 15960
; TotalNumSgprs: 93
; NumVgprs: 72
; ScratchSize: 0
; MemoryBound: 0
; FloatMode: 240
; IeeeMode: 1
; LDSByteSize: 16432 bytes/workgroup (compile time only)
; SGPRBlocks: 0
; VGPRBlocks: 8
; NumSGPRsForWavesPerEU: 93
; NumVGPRsForWavesPerEU: 72
; Occupancy: 12
; WaveLimiterHint : 0
; COMPUTE_PGM_RSRC2:SCRATCH_EN: 0
; COMPUTE_PGM_RSRC2:USER_SGPR: 8
; COMPUTE_PGM_RSRC2:TRAP_HANDLER: 0
; COMPUTE_PGM_RSRC2:TGID_X_EN: 1
; COMPUTE_PGM_RSRC2:TGID_Y_EN: 1
; COMPUTE_PGM_RSRC2:TGID_Z_EN: 0
; COMPUTE_PGM_RSRC2:TIDIG_COMP_CNT: 2
	.section	.AMDGPU.gpr_maximums,"",@progbits
	.set amdgpu.max_num_vgpr, 0
	.set amdgpu.max_num_agpr, 0
	.set amdgpu.max_num_sgpr, 0
	.section	.AMDGPU.csdata,"",@progbits
	.type	__hip_cuid_bf512559cd4f9728,@object ; @__hip_cuid_bf512559cd4f9728
	.section	.bss,"aw",@nobits
	.globl	__hip_cuid_bf512559cd4f9728
__hip_cuid_bf512559cd4f9728:
	.byte	0                               ; 0x0
	.size	__hip_cuid_bf512559cd4f9728, 1

	.ident	"AMD clang version 22.0.0git (https://github.com/RadeonOpenCompute/llvm-project roc-7.2.4 26084 f58b06dce1f9c15707c5f808fd002e18c2accf7e)"
	.section	".note.GNU-stack","",@progbits
	.addrsig
	.addrsig_sym __hip_cuid_bf512559cd4f9728
	.amdgpu_metadata
---
amdhsa.kernels:
  - .args:
      - .address_space:  global
        .offset:         0
        .size:           8
        .value_kind:     global_buffer
      - .offset:         8
        .size:           4
        .value_kind:     by_value
      - .offset:         12
        .size:           4
        .value_kind:     by_value
      - .offset:         16
        .size:           4
        .value_kind:     by_value
      - .offset:         24
        .size:           4
        .value_kind:     hidden_block_count_x
      - .offset:         28
        .size:           4
        .value_kind:     hidden_block_count_y
      - .offset:         32
        .size:           4
        .value_kind:     hidden_block_count_z
      - .offset:         36
        .size:           2
        .value_kind:     hidden_group_size_x
      - .offset:         38
        .size:           2
        .value_kind:     hidden_group_size_y
      - .offset:         40
        .size:           2
        .value_kind:     hidden_group_size_z
      - .offset:         42
        .size:           2
        .value_kind:     hidden_remainder_x
      - .offset:         44
        .size:           2
        .value_kind:     hidden_remainder_y
      - .offset:         46
        .size:           2
        .value_kind:     hidden_remainder_z
      - .offset:         64
        .size:           8
        .value_kind:     hidden_global_offset_x
      - .offset:         72
        .size:           8
        .value_kind:     hidden_global_offset_y
      - .offset:         80
        .size:           8
        .value_kind:     hidden_global_offset_z
      - .offset:         88
        .size:           2
        .value_kind:     hidden_grid_dims
    .group_segment_fixed_size: 0
    .kernarg_segment_align: 8
    .kernarg_segment_size: 280
    .language:       OpenCL C
    .language_version:
      - 2
      - 0
    .max_flat_workgroup_size: 1024
    .name:           _ZN9rocsolver6v33100L10reset_infoIiiiEEvPT_T0_T1_S4_
    .private_segment_fixed_size: 0
    .sgpr_count:     10
    .sgpr_spill_count: 0
    .symbol:         _ZN9rocsolver6v33100L10reset_infoIiiiEEvPT_T0_T1_S4_.kd
    .uniform_work_group_size: 1
    .uses_dynamic_stack: false
    .vgpr_count:     5
    .vgpr_spill_count: 0
    .wavefront_size: 32
    .workgroup_processor_mode: 1
  - .args:
      - .address_space:  global
        .offset:         0
        .size:           8
        .value_kind:     global_buffer
      - .offset:         8
        .size:           8
        .value_kind:     by_value
      - .offset:         16
        .size:           4
        .value_kind:     by_value
      - .offset:         20
        .size:           4
        .value_kind:     by_value
      - .offset:         24
        .size:           4
        .value_kind:     hidden_block_count_x
      - .offset:         28
        .size:           4
        .value_kind:     hidden_block_count_y
      - .offset:         32
        .size:           4
        .value_kind:     hidden_block_count_z
      - .offset:         36
        .size:           2
        .value_kind:     hidden_group_size_x
      - .offset:         38
        .size:           2
        .value_kind:     hidden_group_size_y
      - .offset:         40
        .size:           2
        .value_kind:     hidden_group_size_z
      - .offset:         42
        .size:           2
        .value_kind:     hidden_remainder_x
      - .offset:         44
        .size:           2
        .value_kind:     hidden_remainder_y
      - .offset:         46
        .size:           2
        .value_kind:     hidden_remainder_z
      - .offset:         64
        .size:           8
        .value_kind:     hidden_global_offset_x
      - .offset:         72
        .size:           8
        .value_kind:     hidden_global_offset_y
      - .offset:         80
        .size:           8
        .value_kind:     hidden_global_offset_z
      - .offset:         88
        .size:           2
        .value_kind:     hidden_grid_dims
    .group_segment_fixed_size: 0
    .kernarg_segment_align: 8
    .kernarg_segment_size: 280
    .language:       OpenCL C
    .language_version:
      - 2
      - 0
    .max_flat_workgroup_size: 1024
    .name:           _ZN9rocsolver6v33100L16reset_batch_infoIfiiPfEEvT2_lT0_T1_
    .private_segment_fixed_size: 0
    .sgpr_count:     14
    .sgpr_spill_count: 0
    .symbol:         _ZN9rocsolver6v33100L16reset_batch_infoIfiiPfEEvT2_lT0_T1_.kd
    .uniform_work_group_size: 1
    .uses_dynamic_stack: false
    .vgpr_count:     3
    .vgpr_spill_count: 0
    .wavefront_size: 32
    .workgroup_processor_mode: 1
  - .args:
      - .offset:         0
        .size:           4
        .value_kind:     by_value
      - .offset:         4
        .size:           4
        .value_kind:     by_value
      - .address_space:  global
        .offset:         8
        .size:           8
        .value_kind:     global_buffer
      - .offset:         16
        .size:           4
        .value_kind:     by_value
      - .offset:         20
        .size:           4
        .value_kind:     by_value
      - .offset:         24
        .size:           8
        .value_kind:     by_value
      - .offset:         32
        .size:           4
        .value_kind:     hidden_block_count_x
      - .offset:         36
        .size:           4
        .value_kind:     hidden_block_count_y
      - .offset:         40
        .size:           4
        .value_kind:     hidden_block_count_z
      - .offset:         44
        .size:           2
        .value_kind:     hidden_group_size_x
      - .offset:         46
        .size:           2
        .value_kind:     hidden_group_size_y
      - .offset:         48
        .size:           2
        .value_kind:     hidden_group_size_z
      - .offset:         50
        .size:           2
        .value_kind:     hidden_remainder_x
      - .offset:         52
        .size:           2
        .value_kind:     hidden_remainder_y
      - .offset:         54
        .size:           2
        .value_kind:     hidden_remainder_z
      - .offset:         72
        .size:           8
        .value_kind:     hidden_global_offset_x
      - .offset:         80
        .size:           8
        .value_kind:     hidden_global_offset_y
      - .offset:         88
        .size:           8
        .value_kind:     hidden_global_offset_z
      - .offset:         96
        .size:           2
        .value_kind:     hidden_grid_dims
    .group_segment_fixed_size: 0
    .kernarg_segment_align: 8
    .kernarg_segment_size: 288
    .language:       OpenCL C
    .language_version:
      - 2
      - 0
    .max_flat_workgroup_size: 1024
    .name:           _ZN9rocsolver6v33100L10init_identIfPfEEviiT0_iil
    .private_segment_fixed_size: 0
    .sgpr_count:     11
    .sgpr_spill_count: 0
    .symbol:         _ZN9rocsolver6v33100L10init_identIfPfEEviiT0_iil.kd
    .uniform_work_group_size: 1
    .uses_dynamic_stack: false
    .vgpr_count:     5
    .vgpr_spill_count: 0
    .wavefront_size: 32
    .workgroup_processor_mode: 1
  - .args:
      - .offset:         0
        .size:           4
        .value_kind:     by_value
      - .address_space:  global
        .offset:         8
        .size:           8
        .value_kind:     global_buffer
      - .offset:         16
        .size:           8
        .value_kind:     by_value
      - .address_space:  global
        .offset:         24
        .size:           8
        .value_kind:     global_buffer
      - .offset:         32
        .size:           8
        .value_kind:     by_value
      - .address_space:  global
        .offset:         40
        .size:           8
        .value_kind:     global_buffer
      - .address_space:  global
        .offset:         48
        .size:           8
        .value_kind:     global_buffer
      - .offset:         56
        .size:           4
        .value_kind:     by_value
      - .offset:         60
        .size:           4
        .value_kind:     by_value
      - .offset:         64
        .size:           4
        .value_kind:     by_value
      - .offset:         68
        .size:           4
        .value_kind:     by_value
    .group_segment_fixed_size: 0
    .kernarg_segment_align: 8
    .kernarg_segment_size: 72
    .language:       OpenCL C
    .language_version:
      - 2
      - 0
    .max_flat_workgroup_size: 1024
    .name:           _ZN9rocsolver6v33100L12sterf_kernelIfEEviPT_lS3_lPiS4_iS2_S2_S2_
    .private_segment_fixed_size: 0
    .sgpr_count:     66
    .sgpr_spill_count: 0
    .symbol:         _ZN9rocsolver6v33100L12sterf_kernelIfEEviPT_lS3_lPiS4_iS2_S2_S2_.kd
    .uniform_work_group_size: 1
    .uses_dynamic_stack: false
    .vgpr_count:     31
    .vgpr_spill_count: 0
    .wavefront_size: 32
    .workgroup_processor_mode: 1
  - .args:
      - .offset:         0
        .size:           4
        .value_kind:     by_value
      - .offset:         4
        .size:           4
        .value_kind:     by_value
      - .offset:         8
        .size:           4
        .value_kind:     by_value
      - .offset:         12
        .size:           4
        .value_kind:     by_value
      - .offset:         16
        .size:           4
        .value_kind:     by_value
      - .address_space:  global
        .offset:         24
        .size:           8
        .value_kind:     global_buffer
      - .offset:         32
        .size:           8
        .value_kind:     by_value
      - .address_space:  global
        .offset:         40
        .size:           8
        .value_kind:     global_buffer
      - .offset:         48
        .size:           8
        .value_kind:     by_value
      - .address_space:  global
        .offset:         56
        .size:           8
        .value_kind:     global_buffer
      - .offset:         64
        .size:           8
        .value_kind:     by_value
      - .offset:         72
        .size:           4
        .value_kind:     by_value
      - .offset:         80
        .size:           8
        .value_kind:     by_value
      - .offset:         88
        .size:           4
        .value_kind:     by_value
      - .offset:         96
        .size:           4
        .value_kind:     hidden_block_count_x
      - .offset:         100
        .size:           4
        .value_kind:     hidden_block_count_y
      - .offset:         104
        .size:           4
        .value_kind:     hidden_block_count_z
      - .offset:         108
        .size:           2
        .value_kind:     hidden_group_size_x
      - .offset:         110
        .size:           2
        .value_kind:     hidden_group_size_y
      - .offset:         112
        .size:           2
        .value_kind:     hidden_group_size_z
      - .offset:         114
        .size:           2
        .value_kind:     hidden_remainder_x
      - .offset:         116
        .size:           2
        .value_kind:     hidden_remainder_y
      - .offset:         118
        .size:           2
        .value_kind:     hidden_remainder_z
      - .offset:         136
        .size:           8
        .value_kind:     hidden_global_offset_x
      - .offset:         144
        .size:           8
        .value_kind:     hidden_global_offset_y
      - .offset:         152
        .size:           8
        .value_kind:     hidden_global_offset_z
      - .offset:         160
        .size:           2
        .value_kind:     hidden_grid_dims
    .group_segment_fixed_size: 0
    .kernarg_segment_align: 8
    .kernarg_segment_size: 352
    .language:       OpenCL C
    .language_version:
      - 2
      - 0
    .max_flat_workgroup_size: 64
    .name:           _ZN9rocsolver6v33100L11lasr_kernelIffPfiEEv13rocblas_side_14rocblas_pivot_15rocblas_direct_T2_S6_PT0_lS8_lT1_lS6_lS6_
    .private_segment_fixed_size: 0
    .sgpr_count:     91
    .sgpr_spill_count: 0
    .symbol:         _ZN9rocsolver6v33100L11lasr_kernelIffPfiEEv13rocblas_side_14rocblas_pivot_15rocblas_direct_T2_S6_PT0_lS8_lT1_lS6_lS6_.kd
    .uniform_work_group_size: 1
    .uses_dynamic_stack: false
    .vgpr_count:     41
    .vgpr_spill_count: 0
    .wavefront_size: 32
    .workgroup_processor_mode: 1
  - .args:
      - .offset:         0
        .size:           4
        .value_kind:     by_value
      - .address_space:  global
        .offset:         8
        .size:           8
        .value_kind:     global_buffer
      - .offset:         16
        .size:           4
        .value_kind:     by_value
      - .address_space:  global
        .offset:         24
        .size:           8
        .value_kind:     global_buffer
      - .offset:         32
        .size:           4
        .value_kind:     by_value
      - .offset:         40
        .size:           4
        .value_kind:     hidden_block_count_x
      - .offset:         44
        .size:           4
        .value_kind:     hidden_block_count_y
      - .offset:         48
        .size:           4
        .value_kind:     hidden_block_count_z
      - .offset:         52
        .size:           2
        .value_kind:     hidden_group_size_x
      - .offset:         54
        .size:           2
        .value_kind:     hidden_group_size_y
      - .offset:         56
        .size:           2
        .value_kind:     hidden_group_size_z
      - .offset:         58
        .size:           2
        .value_kind:     hidden_remainder_x
      - .offset:         60
        .size:           2
        .value_kind:     hidden_remainder_y
      - .offset:         62
        .size:           2
        .value_kind:     hidden_remainder_z
      - .offset:         80
        .size:           8
        .value_kind:     hidden_global_offset_x
      - .offset:         88
        .size:           8
        .value_kind:     hidden_global_offset_y
      - .offset:         96
        .size:           8
        .value_kind:     hidden_global_offset_z
      - .offset:         104
        .size:           2
        .value_kind:     hidden_grid_dims
    .group_segment_fixed_size: 0
    .kernarg_segment_align: 8
    .kernarg_segment_size: 296
    .language:       OpenCL C
    .language_version:
      - 2
      - 0
    .max_flat_workgroup_size: 1024
    .name:           _ZN9rocsolver6v33100L11swap_kernelIfiEEvT0_PT_S2_S4_S2_
    .private_segment_fixed_size: 0
    .sgpr_count:     16
    .sgpr_spill_count: 0
    .symbol:         _ZN9rocsolver6v33100L11swap_kernelIfiEEvT0_PT_S2_S4_S2_.kd
    .uniform_work_group_size: 1
    .uses_dynamic_stack: false
    .vgpr_count:     9
    .vgpr_spill_count: 0
    .wavefront_size: 32
    .workgroup_processor_mode: 1
  - .args:
      - .offset:         0
        .size:           4
        .value_kind:     by_value
      - .address_space:  global
        .offset:         8
        .size:           8
        .value_kind:     global_buffer
      - .offset:         16
        .size:           8
        .value_kind:     by_value
      - .address_space:  global
        .offset:         24
        .size:           8
        .value_kind:     global_buffer
      - .offset:         32
        .size:           8
        .value_kind:     by_value
      - .address_space:  global
        .offset:         40
        .size:           8
        .value_kind:     global_buffer
      - .offset:         48
        .size:           4
        .value_kind:     by_value
      - .offset:         52
        .size:           4
        .value_kind:     by_value
      - .offset:         56
        .size:           8
        .value_kind:     by_value
      - .address_space:  global
        .offset:         64
        .size:           8
        .value_kind:     global_buffer
      - .address_space:  global
        .offset:         72
        .size:           8
        .value_kind:     global_buffer
      - .offset:         80
        .size:           4
        .value_kind:     by_value
      - .offset:         84
        .size:           4
        .value_kind:     by_value
      - .offset:         88
        .size:           4
        .value_kind:     by_value
      - .offset:         92
        .size:           4
        .value_kind:     by_value
      - .offset:         96
        .size:           4
        .value_kind:     hidden_block_count_x
      - .offset:         100
        .size:           4
        .value_kind:     hidden_block_count_y
      - .offset:         104
        .size:           4
        .value_kind:     hidden_block_count_z
      - .offset:         108
        .size:           2
        .value_kind:     hidden_group_size_x
      - .offset:         110
        .size:           2
        .value_kind:     hidden_group_size_y
      - .offset:         112
        .size:           2
        .value_kind:     hidden_group_size_z
      - .offset:         114
        .size:           2
        .value_kind:     hidden_remainder_x
      - .offset:         116
        .size:           2
        .value_kind:     hidden_remainder_y
      - .offset:         118
        .size:           2
        .value_kind:     hidden_remainder_z
      - .offset:         136
        .size:           8
        .value_kind:     hidden_global_offset_x
      - .offset:         144
        .size:           8
        .value_kind:     hidden_global_offset_y
      - .offset:         152
        .size:           8
        .value_kind:     hidden_global_offset_z
      - .offset:         160
        .size:           2
        .value_kind:     hidden_grid_dims
    .group_segment_fixed_size: 36
    .kernarg_segment_align: 8
    .kernarg_segment_size: 352
    .language:       OpenCL C
    .language_version:
      - 2
      - 0
    .max_flat_workgroup_size: 1024
    .name:           _ZN9rocsolver6v33100L12steqr_kernelIffPfEEviPT0_lS4_lT1_iilPiS4_iS3_S3_S3_
    .private_segment_fixed_size: 0
    .sgpr_count:     86
    .sgpr_spill_count: 0
    .symbol:         _ZN9rocsolver6v33100L12steqr_kernelIffPfEEviPT0_lS4_lT1_iilPiS4_iS3_S3_S3_.kd
    .uniform_work_group_size: 1
    .uses_dynamic_stack: false
    .vgpr_count:     59
    .vgpr_spill_count: 0
    .wavefront_size: 32
    .workgroup_processor_mode: 1
  - .args:
      - .address_space:  global
        .offset:         0
        .size:           8
        .value_kind:     global_buffer
      - .offset:         8
        .size:           8
        .value_kind:     by_value
      - .offset:         16
        .size:           4
        .value_kind:     by_value
      - .offset:         20
        .size:           4
        .value_kind:     by_value
      - .offset:         24
        .size:           4
        .value_kind:     hidden_block_count_x
      - .offset:         28
        .size:           4
        .value_kind:     hidden_block_count_y
      - .offset:         32
        .size:           4
        .value_kind:     hidden_block_count_z
      - .offset:         36
        .size:           2
        .value_kind:     hidden_group_size_x
      - .offset:         38
        .size:           2
        .value_kind:     hidden_group_size_y
      - .offset:         40
        .size:           2
        .value_kind:     hidden_group_size_z
      - .offset:         42
        .size:           2
        .value_kind:     hidden_remainder_x
      - .offset:         44
        .size:           2
        .value_kind:     hidden_remainder_y
      - .offset:         46
        .size:           2
        .value_kind:     hidden_remainder_z
      - .offset:         64
        .size:           8
        .value_kind:     hidden_global_offset_x
      - .offset:         72
        .size:           8
        .value_kind:     hidden_global_offset_y
      - .offset:         80
        .size:           8
        .value_kind:     hidden_global_offset_z
      - .offset:         88
        .size:           2
        .value_kind:     hidden_grid_dims
    .group_segment_fixed_size: 0
    .kernarg_segment_align: 8
    .kernarg_segment_size: 280
    .language:       OpenCL C
    .language_version:
      - 2
      - 0
    .max_flat_workgroup_size: 1024
    .name:           _ZN9rocsolver6v33100L16reset_batch_infoIdiiPdEEvT2_lT0_T1_
    .private_segment_fixed_size: 0
    .sgpr_count:     14
    .sgpr_spill_count: 0
    .symbol:         _ZN9rocsolver6v33100L16reset_batch_infoIdiiPdEEvT2_lT0_T1_.kd
    .uniform_work_group_size: 1
    .uses_dynamic_stack: false
    .vgpr_count:     4
    .vgpr_spill_count: 0
    .wavefront_size: 32
    .workgroup_processor_mode: 1
  - .args:
      - .offset:         0
        .size:           4
        .value_kind:     by_value
      - .offset:         4
        .size:           4
        .value_kind:     by_value
      - .address_space:  global
        .offset:         8
        .size:           8
        .value_kind:     global_buffer
      - .offset:         16
        .size:           4
        .value_kind:     by_value
      - .offset:         20
        .size:           4
        .value_kind:     by_value
      - .offset:         24
        .size:           8
        .value_kind:     by_value
      - .offset:         32
        .size:           4
        .value_kind:     hidden_block_count_x
      - .offset:         36
        .size:           4
        .value_kind:     hidden_block_count_y
      - .offset:         40
        .size:           4
        .value_kind:     hidden_block_count_z
      - .offset:         44
        .size:           2
        .value_kind:     hidden_group_size_x
      - .offset:         46
        .size:           2
        .value_kind:     hidden_group_size_y
      - .offset:         48
        .size:           2
        .value_kind:     hidden_group_size_z
      - .offset:         50
        .size:           2
        .value_kind:     hidden_remainder_x
      - .offset:         52
        .size:           2
        .value_kind:     hidden_remainder_y
      - .offset:         54
        .size:           2
        .value_kind:     hidden_remainder_z
      - .offset:         72
        .size:           8
        .value_kind:     hidden_global_offset_x
      - .offset:         80
        .size:           8
        .value_kind:     hidden_global_offset_y
      - .offset:         88
        .size:           8
        .value_kind:     hidden_global_offset_z
      - .offset:         96
        .size:           2
        .value_kind:     hidden_grid_dims
    .group_segment_fixed_size: 0
    .kernarg_segment_align: 8
    .kernarg_segment_size: 288
    .language:       OpenCL C
    .language_version:
      - 2
      - 0
    .max_flat_workgroup_size: 1024
    .name:           _ZN9rocsolver6v33100L10init_identIdPdEEviiT0_iil
    .private_segment_fixed_size: 0
    .sgpr_count:     11
    .sgpr_spill_count: 0
    .symbol:         _ZN9rocsolver6v33100L10init_identIdPdEEviiT0_iil.kd
    .uniform_work_group_size: 1
    .uses_dynamic_stack: false
    .vgpr_count:     6
    .vgpr_spill_count: 0
    .wavefront_size: 32
    .workgroup_processor_mode: 1
  - .args:
      - .offset:         0
        .size:           4
        .value_kind:     by_value
      - .address_space:  global
        .offset:         8
        .size:           8
        .value_kind:     global_buffer
      - .offset:         16
        .size:           8
        .value_kind:     by_value
      - .address_space:  global
        .offset:         24
        .size:           8
        .value_kind:     global_buffer
      - .offset:         32
        .size:           8
        .value_kind:     by_value
      - .address_space:  global
        .offset:         40
        .size:           8
        .value_kind:     global_buffer
      - .address_space:  global
        .offset:         48
        .size:           8
        .value_kind:     global_buffer
      - .offset:         56
        .size:           4
        .value_kind:     by_value
      - .offset:         64
        .size:           8
        .value_kind:     by_value
      - .offset:         72
        .size:           8
        .value_kind:     by_value
      - .offset:         80
        .size:           8
        .value_kind:     by_value
    .group_segment_fixed_size: 0
    .kernarg_segment_align: 8
    .kernarg_segment_size: 88
    .language:       OpenCL C
    .language_version:
      - 2
      - 0
    .max_flat_workgroup_size: 1024
    .name:           _ZN9rocsolver6v33100L12sterf_kernelIdEEviPT_lS3_lPiS4_iS2_S2_S2_
    .private_segment_fixed_size: 0
    .sgpr_count:     69
    .sgpr_spill_count: 0
    .symbol:         _ZN9rocsolver6v33100L12sterf_kernelIdEEviPT_lS3_lPiS4_iS2_S2_S2_.kd
    .uniform_work_group_size: 1
    .uses_dynamic_stack: false
    .vgpr_count:     38
    .vgpr_spill_count: 0
    .wavefront_size: 32
    .workgroup_processor_mode: 1
  - .args:
      - .offset:         0
        .size:           4
        .value_kind:     by_value
      - .offset:         4
        .size:           4
        .value_kind:     by_value
      - .offset:         8
        .size:           4
        .value_kind:     by_value
      - .offset:         12
        .size:           4
        .value_kind:     by_value
      - .offset:         16
        .size:           4
        .value_kind:     by_value
      - .address_space:  global
        .offset:         24
        .size:           8
        .value_kind:     global_buffer
      - .offset:         32
        .size:           8
        .value_kind:     by_value
      - .address_space:  global
        .offset:         40
        .size:           8
        .value_kind:     global_buffer
      - .offset:         48
        .size:           8
        .value_kind:     by_value
      - .address_space:  global
        .offset:         56
        .size:           8
        .value_kind:     global_buffer
      - .offset:         64
        .size:           8
        .value_kind:     by_value
      - .offset:         72
        .size:           4
        .value_kind:     by_value
      - .offset:         80
        .size:           8
        .value_kind:     by_value
      - .offset:         88
        .size:           4
        .value_kind:     by_value
      - .offset:         96
        .size:           4
        .value_kind:     hidden_block_count_x
      - .offset:         100
        .size:           4
        .value_kind:     hidden_block_count_y
      - .offset:         104
        .size:           4
        .value_kind:     hidden_block_count_z
      - .offset:         108
        .size:           2
        .value_kind:     hidden_group_size_x
      - .offset:         110
        .size:           2
        .value_kind:     hidden_group_size_y
      - .offset:         112
        .size:           2
        .value_kind:     hidden_group_size_z
      - .offset:         114
        .size:           2
        .value_kind:     hidden_remainder_x
      - .offset:         116
        .size:           2
        .value_kind:     hidden_remainder_y
      - .offset:         118
        .size:           2
        .value_kind:     hidden_remainder_z
      - .offset:         136
        .size:           8
        .value_kind:     hidden_global_offset_x
      - .offset:         144
        .size:           8
        .value_kind:     hidden_global_offset_y
      - .offset:         152
        .size:           8
        .value_kind:     hidden_global_offset_z
      - .offset:         160
        .size:           2
        .value_kind:     hidden_grid_dims
    .group_segment_fixed_size: 0
    .kernarg_segment_align: 8
    .kernarg_segment_size: 352
    .language:       OpenCL C
    .language_version:
      - 2
      - 0
    .max_flat_workgroup_size: 64
    .name:           _ZN9rocsolver6v33100L11lasr_kernelIddPdiEEv13rocblas_side_14rocblas_pivot_15rocblas_direct_T2_S6_PT0_lS8_lT1_lS6_lS6_
    .private_segment_fixed_size: 0
    .sgpr_count:     91
    .sgpr_spill_count: 0
    .symbol:         _ZN9rocsolver6v33100L11lasr_kernelIddPdiEEv13rocblas_side_14rocblas_pivot_15rocblas_direct_T2_S6_PT0_lS8_lT1_lS6_lS6_.kd
    .uniform_work_group_size: 1
    .uses_dynamic_stack: false
    .vgpr_count:     45
    .vgpr_spill_count: 0
    .wavefront_size: 32
    .workgroup_processor_mode: 1
  - .args:
      - .offset:         0
        .size:           4
        .value_kind:     by_value
      - .address_space:  global
        .offset:         8
        .size:           8
        .value_kind:     global_buffer
      - .offset:         16
        .size:           4
        .value_kind:     by_value
      - .address_space:  global
        .offset:         24
        .size:           8
        .value_kind:     global_buffer
      - .offset:         32
        .size:           4
        .value_kind:     by_value
      - .offset:         40
        .size:           4
        .value_kind:     hidden_block_count_x
      - .offset:         44
        .size:           4
        .value_kind:     hidden_block_count_y
      - .offset:         48
        .size:           4
        .value_kind:     hidden_block_count_z
      - .offset:         52
        .size:           2
        .value_kind:     hidden_group_size_x
      - .offset:         54
        .size:           2
        .value_kind:     hidden_group_size_y
      - .offset:         56
        .size:           2
        .value_kind:     hidden_group_size_z
      - .offset:         58
        .size:           2
        .value_kind:     hidden_remainder_x
      - .offset:         60
        .size:           2
        .value_kind:     hidden_remainder_y
      - .offset:         62
        .size:           2
        .value_kind:     hidden_remainder_z
      - .offset:         80
        .size:           8
        .value_kind:     hidden_global_offset_x
      - .offset:         88
        .size:           8
        .value_kind:     hidden_global_offset_y
      - .offset:         96
        .size:           8
        .value_kind:     hidden_global_offset_z
      - .offset:         104
        .size:           2
        .value_kind:     hidden_grid_dims
    .group_segment_fixed_size: 0
    .kernarg_segment_align: 8
    .kernarg_segment_size: 296
    .language:       OpenCL C
    .language_version:
      - 2
      - 0
    .max_flat_workgroup_size: 1024
    .name:           _ZN9rocsolver6v33100L11swap_kernelIdiEEvT0_PT_S2_S4_S2_
    .private_segment_fixed_size: 0
    .sgpr_count:     16
    .sgpr_spill_count: 0
    .symbol:         _ZN9rocsolver6v33100L11swap_kernelIdiEEvT0_PT_S2_S4_S2_.kd
    .uniform_work_group_size: 1
    .uses_dynamic_stack: false
    .vgpr_count:     11
    .vgpr_spill_count: 0
    .wavefront_size: 32
    .workgroup_processor_mode: 1
  - .args:
      - .offset:         0
        .size:           4
        .value_kind:     by_value
      - .address_space:  global
        .offset:         8
        .size:           8
        .value_kind:     global_buffer
      - .offset:         16
        .size:           8
        .value_kind:     by_value
      - .address_space:  global
        .offset:         24
        .size:           8
        .value_kind:     global_buffer
      - .offset:         32
        .size:           8
        .value_kind:     by_value
      - .address_space:  global
        .offset:         40
        .size:           8
        .value_kind:     global_buffer
      - .offset:         48
        .size:           4
        .value_kind:     by_value
      - .offset:         52
        .size:           4
        .value_kind:     by_value
      - .offset:         56
        .size:           8
        .value_kind:     by_value
      - .address_space:  global
        .offset:         64
        .size:           8
        .value_kind:     global_buffer
      - .address_space:  global
        .offset:         72
        .size:           8
        .value_kind:     global_buffer
      - .offset:         80
        .size:           4
        .value_kind:     by_value
      - .offset:         88
        .size:           8
        .value_kind:     by_value
      - .offset:         96
        .size:           8
        .value_kind:     by_value
      - .offset:         104
        .size:           8
        .value_kind:     by_value
      - .offset:         112
        .size:           4
        .value_kind:     hidden_block_count_x
      - .offset:         116
        .size:           4
        .value_kind:     hidden_block_count_y
      - .offset:         120
        .size:           4
        .value_kind:     hidden_block_count_z
      - .offset:         124
        .size:           2
        .value_kind:     hidden_group_size_x
      - .offset:         126
        .size:           2
        .value_kind:     hidden_group_size_y
      - .offset:         128
        .size:           2
        .value_kind:     hidden_group_size_z
      - .offset:         130
        .size:           2
        .value_kind:     hidden_remainder_x
      - .offset:         132
        .size:           2
        .value_kind:     hidden_remainder_y
      - .offset:         134
        .size:           2
        .value_kind:     hidden_remainder_z
      - .offset:         152
        .size:           8
        .value_kind:     hidden_global_offset_x
      - .offset:         160
        .size:           8
        .value_kind:     hidden_global_offset_y
      - .offset:         168
        .size:           8
        .value_kind:     hidden_global_offset_z
      - .offset:         176
        .size:           2
        .value_kind:     hidden_grid_dims
    .group_segment_fixed_size: 48
    .kernarg_segment_align: 8
    .kernarg_segment_size: 368
    .language:       OpenCL C
    .language_version:
      - 2
      - 0
    .max_flat_workgroup_size: 1024
    .name:           _ZN9rocsolver6v33100L12steqr_kernelIddPdEEviPT0_lS4_lT1_iilPiS4_iS3_S3_S3_
    .private_segment_fixed_size: 0
    .sgpr_count:     89
    .sgpr_spill_count: 0
    .symbol:         _ZN9rocsolver6v33100L12steqr_kernelIddPdEEviPT0_lS4_lT1_iilPiS4_iS3_S3_S3_.kd
    .uniform_work_group_size: 1
    .uses_dynamic_stack: false
    .vgpr_count:     65
    .vgpr_spill_count: 0
    .wavefront_size: 32
    .workgroup_processor_mode: 1
  - .args:
      - .address_space:  global
        .offset:         0
        .size:           8
        .value_kind:     global_buffer
      - .offset:         8
        .size:           8
        .value_kind:     by_value
      - .offset:         16
        .size:           4
        .value_kind:     by_value
      - .offset:         20
        .size:           4
        .value_kind:     by_value
      - .offset:         24
        .size:           4
        .value_kind:     hidden_block_count_x
      - .offset:         28
        .size:           4
        .value_kind:     hidden_block_count_y
      - .offset:         32
        .size:           4
        .value_kind:     hidden_block_count_z
      - .offset:         36
        .size:           2
        .value_kind:     hidden_group_size_x
      - .offset:         38
        .size:           2
        .value_kind:     hidden_group_size_y
      - .offset:         40
        .size:           2
        .value_kind:     hidden_group_size_z
      - .offset:         42
        .size:           2
        .value_kind:     hidden_remainder_x
      - .offset:         44
        .size:           2
        .value_kind:     hidden_remainder_y
      - .offset:         46
        .size:           2
        .value_kind:     hidden_remainder_z
      - .offset:         64
        .size:           8
        .value_kind:     hidden_global_offset_x
      - .offset:         72
        .size:           8
        .value_kind:     hidden_global_offset_y
      - .offset:         80
        .size:           8
        .value_kind:     hidden_global_offset_z
      - .offset:         88
        .size:           2
        .value_kind:     hidden_grid_dims
    .group_segment_fixed_size: 0
    .kernarg_segment_align: 8
    .kernarg_segment_size: 280
    .language:       OpenCL C
    .language_version:
      - 2
      - 0
    .max_flat_workgroup_size: 1024
    .name:           _ZN9rocsolver6v33100L16reset_batch_infoI19rocblas_complex_numIfEiiPS3_EEvT2_lT0_T1_
    .private_segment_fixed_size: 0
    .sgpr_count:     14
    .sgpr_spill_count: 0
    .symbol:         _ZN9rocsolver6v33100L16reset_batch_infoI19rocblas_complex_numIfEiiPS3_EEvT2_lT0_T1_.kd
    .uniform_work_group_size: 1
    .uses_dynamic_stack: false
    .vgpr_count:     4
    .vgpr_spill_count: 0
    .wavefront_size: 32
    .workgroup_processor_mode: 1
  - .args:
      - .offset:         0
        .size:           4
        .value_kind:     by_value
      - .offset:         4
        .size:           4
        .value_kind:     by_value
      - .address_space:  global
        .offset:         8
        .size:           8
        .value_kind:     global_buffer
      - .offset:         16
        .size:           4
        .value_kind:     by_value
      - .offset:         20
        .size:           4
        .value_kind:     by_value
      - .offset:         24
        .size:           8
        .value_kind:     by_value
      - .offset:         32
        .size:           4
        .value_kind:     hidden_block_count_x
      - .offset:         36
        .size:           4
        .value_kind:     hidden_block_count_y
      - .offset:         40
        .size:           4
        .value_kind:     hidden_block_count_z
      - .offset:         44
        .size:           2
        .value_kind:     hidden_group_size_x
      - .offset:         46
        .size:           2
        .value_kind:     hidden_group_size_y
      - .offset:         48
        .size:           2
        .value_kind:     hidden_group_size_z
      - .offset:         50
        .size:           2
        .value_kind:     hidden_remainder_x
      - .offset:         52
        .size:           2
        .value_kind:     hidden_remainder_y
      - .offset:         54
        .size:           2
        .value_kind:     hidden_remainder_z
      - .offset:         72
        .size:           8
        .value_kind:     hidden_global_offset_x
      - .offset:         80
        .size:           8
        .value_kind:     hidden_global_offset_y
      - .offset:         88
        .size:           8
        .value_kind:     hidden_global_offset_z
      - .offset:         96
        .size:           2
        .value_kind:     hidden_grid_dims
    .group_segment_fixed_size: 0
    .kernarg_segment_align: 8
    .kernarg_segment_size: 288
    .language:       OpenCL C
    .language_version:
      - 2
      - 0
    .max_flat_workgroup_size: 1024
    .name:           _ZN9rocsolver6v33100L10init_identI19rocblas_complex_numIfEPS3_EEviiT0_iil
    .private_segment_fixed_size: 0
    .sgpr_count:     11
    .sgpr_spill_count: 0
    .symbol:         _ZN9rocsolver6v33100L10init_identI19rocblas_complex_numIfEPS3_EEviiT0_iil.kd
    .uniform_work_group_size: 1
    .uses_dynamic_stack: false
    .vgpr_count:     7
    .vgpr_spill_count: 0
    .wavefront_size: 32
    .workgroup_processor_mode: 1
  - .args:
      - .offset:         0
        .size:           4
        .value_kind:     by_value
      - .offset:         4
        .size:           4
        .value_kind:     by_value
      - .offset:         8
        .size:           4
        .value_kind:     by_value
      - .offset:         12
        .size:           4
        .value_kind:     by_value
      - .offset:         16
        .size:           4
        .value_kind:     by_value
      - .address_space:  global
        .offset:         24
        .size:           8
        .value_kind:     global_buffer
      - .offset:         32
        .size:           8
        .value_kind:     by_value
      - .address_space:  global
        .offset:         40
        .size:           8
        .value_kind:     global_buffer
      - .offset:         48
        .size:           8
        .value_kind:     by_value
      - .address_space:  global
        .offset:         56
        .size:           8
        .value_kind:     global_buffer
      - .offset:         64
        .size:           8
        .value_kind:     by_value
      - .offset:         72
        .size:           4
        .value_kind:     by_value
      - .offset:         80
        .size:           8
        .value_kind:     by_value
      - .offset:         88
        .size:           4
        .value_kind:     by_value
      - .offset:         96
        .size:           4
        .value_kind:     hidden_block_count_x
      - .offset:         100
        .size:           4
        .value_kind:     hidden_block_count_y
      - .offset:         104
        .size:           4
        .value_kind:     hidden_block_count_z
      - .offset:         108
        .size:           2
        .value_kind:     hidden_group_size_x
      - .offset:         110
        .size:           2
        .value_kind:     hidden_group_size_y
      - .offset:         112
        .size:           2
        .value_kind:     hidden_group_size_z
      - .offset:         114
        .size:           2
        .value_kind:     hidden_remainder_x
      - .offset:         116
        .size:           2
        .value_kind:     hidden_remainder_y
      - .offset:         118
        .size:           2
        .value_kind:     hidden_remainder_z
      - .offset:         136
        .size:           8
        .value_kind:     hidden_global_offset_x
      - .offset:         144
        .size:           8
        .value_kind:     hidden_global_offset_y
      - .offset:         152
        .size:           8
        .value_kind:     hidden_global_offset_z
      - .offset:         160
        .size:           2
        .value_kind:     hidden_grid_dims
    .group_segment_fixed_size: 0
    .kernarg_segment_align: 8
    .kernarg_segment_size: 352
    .language:       OpenCL C
    .language_version:
      - 2
      - 0
    .max_flat_workgroup_size: 64
    .name:           _ZN9rocsolver6v33100L11lasr_kernelI19rocblas_complex_numIfEfPS3_iEEv13rocblas_side_14rocblas_pivot_15rocblas_direct_T2_S8_PT0_lSA_lT1_lS8_lS8_
    .private_segment_fixed_size: 0
    .sgpr_count:     91
    .sgpr_spill_count: 0
    .symbol:         _ZN9rocsolver6v33100L11lasr_kernelI19rocblas_complex_numIfEfPS3_iEEv13rocblas_side_14rocblas_pivot_15rocblas_direct_T2_S8_PT0_lSA_lT1_lS8_lS8_.kd
    .uniform_work_group_size: 1
    .uses_dynamic_stack: false
    .vgpr_count:     45
    .vgpr_spill_count: 0
    .wavefront_size: 32
    .workgroup_processor_mode: 1
  - .args:
      - .offset:         0
        .size:           4
        .value_kind:     by_value
      - .address_space:  global
        .offset:         8
        .size:           8
        .value_kind:     global_buffer
      - .offset:         16
        .size:           4
        .value_kind:     by_value
      - .address_space:  global
        .offset:         24
        .size:           8
        .value_kind:     global_buffer
      - .offset:         32
        .size:           4
        .value_kind:     by_value
      - .offset:         40
        .size:           4
        .value_kind:     hidden_block_count_x
      - .offset:         44
        .size:           4
        .value_kind:     hidden_block_count_y
      - .offset:         48
        .size:           4
        .value_kind:     hidden_block_count_z
      - .offset:         52
        .size:           2
        .value_kind:     hidden_group_size_x
      - .offset:         54
        .size:           2
        .value_kind:     hidden_group_size_y
      - .offset:         56
        .size:           2
        .value_kind:     hidden_group_size_z
      - .offset:         58
        .size:           2
        .value_kind:     hidden_remainder_x
      - .offset:         60
        .size:           2
        .value_kind:     hidden_remainder_y
      - .offset:         62
        .size:           2
        .value_kind:     hidden_remainder_z
      - .offset:         80
        .size:           8
        .value_kind:     hidden_global_offset_x
      - .offset:         88
        .size:           8
        .value_kind:     hidden_global_offset_y
      - .offset:         96
        .size:           8
        .value_kind:     hidden_global_offset_z
      - .offset:         104
        .size:           2
        .value_kind:     hidden_grid_dims
    .group_segment_fixed_size: 0
    .kernarg_segment_align: 8
    .kernarg_segment_size: 296
    .language:       OpenCL C
    .language_version:
      - 2
      - 0
    .max_flat_workgroup_size: 1024
    .name:           _ZN9rocsolver6v33100L11swap_kernelI19rocblas_complex_numIfEiEEvT0_PT_S4_S6_S4_
    .private_segment_fixed_size: 0
    .sgpr_count:     16
    .sgpr_spill_count: 0
    .symbol:         _ZN9rocsolver6v33100L11swap_kernelI19rocblas_complex_numIfEiEEvT0_PT_S4_S6_S4_.kd
    .uniform_work_group_size: 1
    .uses_dynamic_stack: false
    .vgpr_count:     11
    .vgpr_spill_count: 0
    .wavefront_size: 32
    .workgroup_processor_mode: 1
  - .args:
      - .offset:         0
        .size:           4
        .value_kind:     by_value
      - .address_space:  global
        .offset:         8
        .size:           8
        .value_kind:     global_buffer
      - .offset:         16
        .size:           8
        .value_kind:     by_value
      - .address_space:  global
        .offset:         24
        .size:           8
        .value_kind:     global_buffer
      - .offset:         32
        .size:           8
        .value_kind:     by_value
      - .address_space:  global
        .offset:         40
        .size:           8
        .value_kind:     global_buffer
      - .offset:         48
        .size:           4
        .value_kind:     by_value
      - .offset:         52
        .size:           4
        .value_kind:     by_value
      - .offset:         56
        .size:           8
        .value_kind:     by_value
      - .address_space:  global
        .offset:         64
        .size:           8
        .value_kind:     global_buffer
      - .address_space:  global
        .offset:         72
        .size:           8
        .value_kind:     global_buffer
      - .offset:         80
        .size:           4
        .value_kind:     by_value
      - .offset:         84
        .size:           4
        .value_kind:     by_value
      - .offset:         88
        .size:           4
        .value_kind:     by_value
      - .offset:         92
        .size:           4
        .value_kind:     by_value
      - .offset:         96
        .size:           4
        .value_kind:     hidden_block_count_x
      - .offset:         100
        .size:           4
        .value_kind:     hidden_block_count_y
      - .offset:         104
        .size:           4
        .value_kind:     hidden_block_count_z
      - .offset:         108
        .size:           2
        .value_kind:     hidden_group_size_x
      - .offset:         110
        .size:           2
        .value_kind:     hidden_group_size_y
      - .offset:         112
        .size:           2
        .value_kind:     hidden_group_size_z
      - .offset:         114
        .size:           2
        .value_kind:     hidden_remainder_x
      - .offset:         116
        .size:           2
        .value_kind:     hidden_remainder_y
      - .offset:         118
        .size:           2
        .value_kind:     hidden_remainder_z
      - .offset:         136
        .size:           8
        .value_kind:     hidden_global_offset_x
      - .offset:         144
        .size:           8
        .value_kind:     hidden_global_offset_y
      - .offset:         152
        .size:           8
        .value_kind:     hidden_global_offset_z
      - .offset:         160
        .size:           2
        .value_kind:     hidden_grid_dims
    .group_segment_fixed_size: 36
    .kernarg_segment_align: 8
    .kernarg_segment_size: 352
    .language:       OpenCL C
    .language_version:
      - 2
      - 0
    .max_flat_workgroup_size: 1024
    .name:           _ZN9rocsolver6v33100L12steqr_kernelI19rocblas_complex_numIfEfPS3_EEviPT0_lS6_lT1_iilPiS6_iS5_S5_S5_
    .private_segment_fixed_size: 0
    .sgpr_count:     88
    .sgpr_spill_count: 0
    .symbol:         _ZN9rocsolver6v33100L12steqr_kernelI19rocblas_complex_numIfEfPS3_EEviPT0_lS6_lT1_iilPiS6_iS5_S5_S5_.kd
    .uniform_work_group_size: 1
    .uses_dynamic_stack: false
    .vgpr_count:     59
    .vgpr_spill_count: 0
    .wavefront_size: 32
    .workgroup_processor_mode: 1
  - .args:
      - .address_space:  global
        .offset:         0
        .size:           8
        .value_kind:     global_buffer
      - .offset:         8
        .size:           8
        .value_kind:     by_value
      - .offset:         16
        .size:           4
        .value_kind:     by_value
      - .offset:         20
        .size:           4
        .value_kind:     by_value
      - .offset:         24
        .size:           4
        .value_kind:     hidden_block_count_x
      - .offset:         28
        .size:           4
        .value_kind:     hidden_block_count_y
      - .offset:         32
        .size:           4
        .value_kind:     hidden_block_count_z
      - .offset:         36
        .size:           2
        .value_kind:     hidden_group_size_x
      - .offset:         38
        .size:           2
        .value_kind:     hidden_group_size_y
      - .offset:         40
        .size:           2
        .value_kind:     hidden_group_size_z
      - .offset:         42
        .size:           2
        .value_kind:     hidden_remainder_x
      - .offset:         44
        .size:           2
        .value_kind:     hidden_remainder_y
      - .offset:         46
        .size:           2
        .value_kind:     hidden_remainder_z
      - .offset:         64
        .size:           8
        .value_kind:     hidden_global_offset_x
      - .offset:         72
        .size:           8
        .value_kind:     hidden_global_offset_y
      - .offset:         80
        .size:           8
        .value_kind:     hidden_global_offset_z
      - .offset:         88
        .size:           2
        .value_kind:     hidden_grid_dims
    .group_segment_fixed_size: 0
    .kernarg_segment_align: 8
    .kernarg_segment_size: 280
    .language:       OpenCL C
    .language_version:
      - 2
      - 0
    .max_flat_workgroup_size: 1024
    .name:           _ZN9rocsolver6v33100L16reset_batch_infoI19rocblas_complex_numIdEiiPS3_EEvT2_lT0_T1_
    .private_segment_fixed_size: 0
    .sgpr_count:     14
    .sgpr_spill_count: 0
    .symbol:         _ZN9rocsolver6v33100L16reset_batch_infoI19rocblas_complex_numIdEiiPS3_EEvT2_lT0_T1_.kd
    .uniform_work_group_size: 1
    .uses_dynamic_stack: false
    .vgpr_count:     6
    .vgpr_spill_count: 0
    .wavefront_size: 32
    .workgroup_processor_mode: 1
  - .args:
      - .offset:         0
        .size:           4
        .value_kind:     by_value
      - .offset:         4
        .size:           4
        .value_kind:     by_value
      - .address_space:  global
        .offset:         8
        .size:           8
        .value_kind:     global_buffer
      - .offset:         16
        .size:           4
        .value_kind:     by_value
      - .offset:         20
        .size:           4
        .value_kind:     by_value
      - .offset:         24
        .size:           8
        .value_kind:     by_value
      - .offset:         32
        .size:           4
        .value_kind:     hidden_block_count_x
      - .offset:         36
        .size:           4
        .value_kind:     hidden_block_count_y
      - .offset:         40
        .size:           4
        .value_kind:     hidden_block_count_z
      - .offset:         44
        .size:           2
        .value_kind:     hidden_group_size_x
      - .offset:         46
        .size:           2
        .value_kind:     hidden_group_size_y
      - .offset:         48
        .size:           2
        .value_kind:     hidden_group_size_z
      - .offset:         50
        .size:           2
        .value_kind:     hidden_remainder_x
      - .offset:         52
        .size:           2
        .value_kind:     hidden_remainder_y
      - .offset:         54
        .size:           2
        .value_kind:     hidden_remainder_z
      - .offset:         72
        .size:           8
        .value_kind:     hidden_global_offset_x
      - .offset:         80
        .size:           8
        .value_kind:     hidden_global_offset_y
      - .offset:         88
        .size:           8
        .value_kind:     hidden_global_offset_z
      - .offset:         96
        .size:           2
        .value_kind:     hidden_grid_dims
    .group_segment_fixed_size: 0
    .kernarg_segment_align: 8
    .kernarg_segment_size: 288
    .language:       OpenCL C
    .language_version:
      - 2
      - 0
    .max_flat_workgroup_size: 1024
    .name:           _ZN9rocsolver6v33100L10init_identI19rocblas_complex_numIdEPS3_EEviiT0_iil
    .private_segment_fixed_size: 0
    .sgpr_count:     11
    .sgpr_spill_count: 0
    .symbol:         _ZN9rocsolver6v33100L10init_identI19rocblas_complex_numIdEPS3_EEviiT0_iil.kd
    .uniform_work_group_size: 1
    .uses_dynamic_stack: false
    .vgpr_count:     6
    .vgpr_spill_count: 0
    .wavefront_size: 32
    .workgroup_processor_mode: 1
  - .args:
      - .offset:         0
        .size:           4
        .value_kind:     by_value
      - .offset:         4
        .size:           4
        .value_kind:     by_value
      - .offset:         8
        .size:           4
        .value_kind:     by_value
      - .offset:         12
        .size:           4
        .value_kind:     by_value
      - .offset:         16
        .size:           4
        .value_kind:     by_value
      - .address_space:  global
        .offset:         24
        .size:           8
        .value_kind:     global_buffer
      - .offset:         32
        .size:           8
        .value_kind:     by_value
      - .address_space:  global
        .offset:         40
        .size:           8
        .value_kind:     global_buffer
      - .offset:         48
        .size:           8
        .value_kind:     by_value
      - .address_space:  global
        .offset:         56
        .size:           8
        .value_kind:     global_buffer
      - .offset:         64
        .size:           8
        .value_kind:     by_value
      - .offset:         72
        .size:           4
        .value_kind:     by_value
      - .offset:         80
        .size:           8
        .value_kind:     by_value
      - .offset:         88
        .size:           4
        .value_kind:     by_value
      - .offset:         96
        .size:           4
        .value_kind:     hidden_block_count_x
      - .offset:         100
        .size:           4
        .value_kind:     hidden_block_count_y
      - .offset:         104
        .size:           4
        .value_kind:     hidden_block_count_z
      - .offset:         108
        .size:           2
        .value_kind:     hidden_group_size_x
      - .offset:         110
        .size:           2
        .value_kind:     hidden_group_size_y
      - .offset:         112
        .size:           2
        .value_kind:     hidden_group_size_z
      - .offset:         114
        .size:           2
        .value_kind:     hidden_remainder_x
      - .offset:         116
        .size:           2
        .value_kind:     hidden_remainder_y
      - .offset:         118
        .size:           2
        .value_kind:     hidden_remainder_z
      - .offset:         136
        .size:           8
        .value_kind:     hidden_global_offset_x
      - .offset:         144
        .size:           8
        .value_kind:     hidden_global_offset_y
      - .offset:         152
        .size:           8
        .value_kind:     hidden_global_offset_z
      - .offset:         160
        .size:           2
        .value_kind:     hidden_grid_dims
    .group_segment_fixed_size: 0
    .kernarg_segment_align: 8
    .kernarg_segment_size: 352
    .language:       OpenCL C
    .language_version:
      - 2
      - 0
    .max_flat_workgroup_size: 64
    .name:           _ZN9rocsolver6v33100L11lasr_kernelI19rocblas_complex_numIdEdPS3_iEEv13rocblas_side_14rocblas_pivot_15rocblas_direct_T2_S8_PT0_lSA_lT1_lS8_lS8_
    .private_segment_fixed_size: 0
    .sgpr_count:     91
    .sgpr_spill_count: 0
    .symbol:         _ZN9rocsolver6v33100L11lasr_kernelI19rocblas_complex_numIdEdPS3_iEEv13rocblas_side_14rocblas_pivot_15rocblas_direct_T2_S8_PT0_lSA_lT1_lS8_lS8_.kd
    .uniform_work_group_size: 1
    .uses_dynamic_stack: false
    .vgpr_count:     55
    .vgpr_spill_count: 0
    .wavefront_size: 32
    .workgroup_processor_mode: 1
  - .args:
      - .offset:         0
        .size:           4
        .value_kind:     by_value
      - .address_space:  global
        .offset:         8
        .size:           8
        .value_kind:     global_buffer
      - .offset:         16
        .size:           4
        .value_kind:     by_value
      - .address_space:  global
        .offset:         24
        .size:           8
        .value_kind:     global_buffer
      - .offset:         32
        .size:           4
        .value_kind:     by_value
      - .offset:         40
        .size:           4
        .value_kind:     hidden_block_count_x
      - .offset:         44
        .size:           4
        .value_kind:     hidden_block_count_y
      - .offset:         48
        .size:           4
        .value_kind:     hidden_block_count_z
      - .offset:         52
        .size:           2
        .value_kind:     hidden_group_size_x
      - .offset:         54
        .size:           2
        .value_kind:     hidden_group_size_y
      - .offset:         56
        .size:           2
        .value_kind:     hidden_group_size_z
      - .offset:         58
        .size:           2
        .value_kind:     hidden_remainder_x
      - .offset:         60
        .size:           2
        .value_kind:     hidden_remainder_y
      - .offset:         62
        .size:           2
        .value_kind:     hidden_remainder_z
      - .offset:         80
        .size:           8
        .value_kind:     hidden_global_offset_x
      - .offset:         88
        .size:           8
        .value_kind:     hidden_global_offset_y
      - .offset:         96
        .size:           8
        .value_kind:     hidden_global_offset_z
      - .offset:         104
        .size:           2
        .value_kind:     hidden_grid_dims
    .group_segment_fixed_size: 32768
    .kernarg_segment_align: 8
    .kernarg_segment_size: 296
    .language:       OpenCL C
    .language_version:
      - 2
      - 0
    .max_flat_workgroup_size: 1024
    .name:           _ZN9rocsolver6v33100L11swap_kernelI19rocblas_complex_numIdEiEEvT0_PT_S4_S6_S4_
    .private_segment_fixed_size: 0
    .sgpr_count:     18
    .sgpr_spill_count: 0
    .symbol:         _ZN9rocsolver6v33100L11swap_kernelI19rocblas_complex_numIdEiEEvT0_PT_S4_S6_S4_.kd
    .uniform_work_group_size: 1
    .uses_dynamic_stack: false
    .vgpr_count:     16
    .vgpr_spill_count: 0
    .wavefront_size: 32
    .workgroup_processor_mode: 1
  - .args:
      - .offset:         0
        .size:           4
        .value_kind:     by_value
      - .address_space:  global
        .offset:         8
        .size:           8
        .value_kind:     global_buffer
      - .offset:         16
        .size:           8
        .value_kind:     by_value
      - .address_space:  global
        .offset:         24
        .size:           8
        .value_kind:     global_buffer
      - .offset:         32
        .size:           8
        .value_kind:     by_value
      - .address_space:  global
        .offset:         40
        .size:           8
        .value_kind:     global_buffer
      - .offset:         48
        .size:           4
        .value_kind:     by_value
      - .offset:         52
        .size:           4
        .value_kind:     by_value
      - .offset:         56
        .size:           8
        .value_kind:     by_value
      - .address_space:  global
        .offset:         64
        .size:           8
        .value_kind:     global_buffer
      - .address_space:  global
        .offset:         72
        .size:           8
        .value_kind:     global_buffer
      - .offset:         80
        .size:           4
        .value_kind:     by_value
      - .offset:         88
        .size:           8
        .value_kind:     by_value
      - .offset:         96
        .size:           8
        .value_kind:     by_value
      - .offset:         104
        .size:           8
        .value_kind:     by_value
      - .offset:         112
        .size:           4
        .value_kind:     hidden_block_count_x
      - .offset:         116
        .size:           4
        .value_kind:     hidden_block_count_y
      - .offset:         120
        .size:           4
        .value_kind:     hidden_block_count_z
      - .offset:         124
        .size:           2
        .value_kind:     hidden_group_size_x
      - .offset:         126
        .size:           2
        .value_kind:     hidden_group_size_y
      - .offset:         128
        .size:           2
        .value_kind:     hidden_group_size_z
      - .offset:         130
        .size:           2
        .value_kind:     hidden_remainder_x
      - .offset:         132
        .size:           2
        .value_kind:     hidden_remainder_y
      - .offset:         134
        .size:           2
        .value_kind:     hidden_remainder_z
      - .offset:         152
        .size:           8
        .value_kind:     hidden_global_offset_x
      - .offset:         160
        .size:           8
        .value_kind:     hidden_global_offset_y
      - .offset:         168
        .size:           8
        .value_kind:     hidden_global_offset_z
      - .offset:         176
        .size:           2
        .value_kind:     hidden_grid_dims
    .group_segment_fixed_size: 16432
    .kernarg_segment_align: 8
    .kernarg_segment_size: 368
    .language:       OpenCL C
    .language_version:
      - 2
      - 0
    .max_flat_workgroup_size: 1024
    .name:           _ZN9rocsolver6v33100L12steqr_kernelI19rocblas_complex_numIdEdPS3_EEviPT0_lS6_lT1_iilPiS6_iS5_S5_S5_
    .private_segment_fixed_size: 0
    .sgpr_count:     93
    .sgpr_spill_count: 0
    .symbol:         _ZN9rocsolver6v33100L12steqr_kernelI19rocblas_complex_numIdEdPS3_EEviPT0_lS6_lT1_iilPiS6_iS5_S5_S5_.kd
    .uniform_work_group_size: 1
    .uses_dynamic_stack: false
    .vgpr_count:     72
    .vgpr_spill_count: 0
    .wavefront_size: 32
    .workgroup_processor_mode: 1
amdhsa.target:   amdgcn-amd-amdhsa--gfx1030
amdhsa.version:
  - 1
  - 2
...

	.end_amdgpu_metadata
